;; amdgpu-corpus repo=ROCm/composable_kernel kind=compiled arch=gfx1100 opt=O3
	.text
	.amdgcn_target "amdgcn-amd-amdhsa--gfx1100"
	.amdhsa_code_object_version 6
	.section	.text._ZN2ckL12flush_icacheEv,"axG",@progbits,_ZN2ckL12flush_icacheEv,comdat
	.globl	_ZN2ckL12flush_icacheEv         ; -- Begin function _ZN2ckL12flush_icacheEv
	.p2align	8
	.type	_ZN2ckL12flush_icacheEv,@function
_ZN2ckL12flush_icacheEv:                ; @_ZN2ckL12flush_icacheEv
; %bb.0:
	;;#ASMSTART
	s_icache_inv 
	s_nop 0 
	s_nop 0 
	;; [unrolled: 1-line block ×16, first 2 shown]
	
	;;#ASMEND
	s_endpgm
	.section	.rodata,"a",@progbits
	.p2align	6, 0x0
	.amdhsa_kernel _ZN2ckL12flush_icacheEv
		.amdhsa_group_segment_fixed_size 0
		.amdhsa_private_segment_fixed_size 0
		.amdhsa_kernarg_size 0
		.amdhsa_user_sgpr_count 15
		.amdhsa_user_sgpr_dispatch_ptr 0
		.amdhsa_user_sgpr_queue_ptr 0
		.amdhsa_user_sgpr_kernarg_segment_ptr 0
		.amdhsa_user_sgpr_dispatch_id 0
		.amdhsa_user_sgpr_private_segment_size 0
		.amdhsa_wavefront_size32 1
		.amdhsa_uses_dynamic_stack 0
		.amdhsa_enable_private_segment 0
		.amdhsa_system_sgpr_workgroup_id_x 1
		.amdhsa_system_sgpr_workgroup_id_y 0
		.amdhsa_system_sgpr_workgroup_id_z 0
		.amdhsa_system_sgpr_workgroup_info 0
		.amdhsa_system_vgpr_workitem_id 0
		.amdhsa_next_free_vgpr 1
		.amdhsa_next_free_sgpr 1
		.amdhsa_reserve_vcc 0
		.amdhsa_float_round_mode_32 0
		.amdhsa_float_round_mode_16_64 0
		.amdhsa_float_denorm_mode_32 3
		.amdhsa_float_denorm_mode_16_64 3
		.amdhsa_dx10_clamp 1
		.amdhsa_ieee_mode 1
		.amdhsa_fp16_overflow 0
		.amdhsa_workgroup_processor_mode 1
		.amdhsa_memory_ordered 1
		.amdhsa_forward_progress 0
		.amdhsa_shared_vgpr_count 0
		.amdhsa_exception_fp_ieee_invalid_op 0
		.amdhsa_exception_fp_denorm_src 0
		.amdhsa_exception_fp_ieee_div_zero 0
		.amdhsa_exception_fp_ieee_overflow 0
		.amdhsa_exception_fp_ieee_underflow 0
		.amdhsa_exception_fp_ieee_inexact 0
		.amdhsa_exception_int_div_zero 0
	.end_amdhsa_kernel
	.section	.text._ZN2ckL12flush_icacheEv,"axG",@progbits,_ZN2ckL12flush_icacheEv,comdat
.Lfunc_end0:
	.size	_ZN2ckL12flush_icacheEv, .Lfunc_end0-_ZN2ckL12flush_icacheEv
                                        ; -- End function
	.section	.AMDGPU.csdata,"",@progbits
; Kernel info:
; codeLenInByte = 344
; NumSgprs: 0
; NumVgprs: 0
; ScratchSize: 0
; MemoryBound: 0
; FloatMode: 240
; IeeeMode: 1
; LDSByteSize: 0 bytes/workgroup (compile time only)
; SGPRBlocks: 0
; VGPRBlocks: 0
; NumSGPRsForWavesPerEU: 1
; NumVGPRsForWavesPerEU: 1
; Occupancy: 16
; WaveLimiterHint : 0
; COMPUTE_PGM_RSRC2:SCRATCH_EN: 0
; COMPUTE_PGM_RSRC2:USER_SGPR: 15
; COMPUTE_PGM_RSRC2:TRAP_HANDLER: 0
; COMPUTE_PGM_RSRC2:TGID_X_EN: 1
; COMPUTE_PGM_RSRC2:TGID_Y_EN: 0
; COMPUTE_PGM_RSRC2:TGID_Z_EN: 0
; COMPUTE_PGM_RSRC2:TIDIG_COMP_CNT: 0
	.section	.text._ZN2ck27kernel_gemm_xdl_cshuffle_v1INS_43GridwiseGemm_k0mk1_k0nk1_mn_xdl_cshuffle_v1INS_13tensor_layout4gemm8RowMajorENS3_11ColumnMajorES4_aaiaaNS_16tensor_operation12element_wise11PassThroughES8_S8_LNS6_6device18GemmSpecializationE0ELNS_25InMemoryDataOperationEnumE0ELi1ELi256ELi256ELi128ELi64ELi16ELi16ELi16ELi16ELi8ELi4ENS_8SequenceIJLi4ELi64ELi1EEEENSC_IJLi1ELi0ELi2EEEESE_Li2ELi16ELi16ELb0ELi1ESD_SE_SE_Li2ELi8ELi8ELb0ELi1ELi1ELi1ENSC_IJLi1ELi32ELi1ELi8EEEELi4ELNS_13LoopSchedulerE0ELNS_15PipelineVersionE0EaaEELb1EEEvNT_8ArgumentE,"axG",@progbits,_ZN2ck27kernel_gemm_xdl_cshuffle_v1INS_43GridwiseGemm_k0mk1_k0nk1_mn_xdl_cshuffle_v1INS_13tensor_layout4gemm8RowMajorENS3_11ColumnMajorES4_aaiaaNS_16tensor_operation12element_wise11PassThroughES8_S8_LNS6_6device18GemmSpecializationE0ELNS_25InMemoryDataOperationEnumE0ELi1ELi256ELi256ELi128ELi64ELi16ELi16ELi16ELi16ELi8ELi4ENS_8SequenceIJLi4ELi64ELi1EEEENSC_IJLi1ELi0ELi2EEEESE_Li2ELi16ELi16ELb0ELi1ESD_SE_SE_Li2ELi8ELi8ELb0ELi1ELi1ELi1ENSC_IJLi1ELi32ELi1ELi8EEEELi4ELNS_13LoopSchedulerE0ELNS_15PipelineVersionE0EaaEELb1EEEvNT_8ArgumentE,comdat
	.protected	_ZN2ck27kernel_gemm_xdl_cshuffle_v1INS_43GridwiseGemm_k0mk1_k0nk1_mn_xdl_cshuffle_v1INS_13tensor_layout4gemm8RowMajorENS3_11ColumnMajorES4_aaiaaNS_16tensor_operation12element_wise11PassThroughES8_S8_LNS6_6device18GemmSpecializationE0ELNS_25InMemoryDataOperationEnumE0ELi1ELi256ELi256ELi128ELi64ELi16ELi16ELi16ELi16ELi8ELi4ENS_8SequenceIJLi4ELi64ELi1EEEENSC_IJLi1ELi0ELi2EEEESE_Li2ELi16ELi16ELb0ELi1ESD_SE_SE_Li2ELi8ELi8ELb0ELi1ELi1ELi1ENSC_IJLi1ELi32ELi1ELi8EEEELi4ELNS_13LoopSchedulerE0ELNS_15PipelineVersionE0EaaEELb1EEEvNT_8ArgumentE ; -- Begin function _ZN2ck27kernel_gemm_xdl_cshuffle_v1INS_43GridwiseGemm_k0mk1_k0nk1_mn_xdl_cshuffle_v1INS_13tensor_layout4gemm8RowMajorENS3_11ColumnMajorES4_aaiaaNS_16tensor_operation12element_wise11PassThroughES8_S8_LNS6_6device18GemmSpecializationE0ELNS_25InMemoryDataOperationEnumE0ELi1ELi256ELi256ELi128ELi64ELi16ELi16ELi16ELi16ELi8ELi4ENS_8SequenceIJLi4ELi64ELi1EEEENSC_IJLi1ELi0ELi2EEEESE_Li2ELi16ELi16ELb0ELi1ESD_SE_SE_Li2ELi8ELi8ELb0ELi1ELi1ELi1ENSC_IJLi1ELi32ELi1ELi8EEEELi4ELNS_13LoopSchedulerE0ELNS_15PipelineVersionE0EaaEELb1EEEvNT_8ArgumentE
	.globl	_ZN2ck27kernel_gemm_xdl_cshuffle_v1INS_43GridwiseGemm_k0mk1_k0nk1_mn_xdl_cshuffle_v1INS_13tensor_layout4gemm8RowMajorENS3_11ColumnMajorES4_aaiaaNS_16tensor_operation12element_wise11PassThroughES8_S8_LNS6_6device18GemmSpecializationE0ELNS_25InMemoryDataOperationEnumE0ELi1ELi256ELi256ELi128ELi64ELi16ELi16ELi16ELi16ELi8ELi4ENS_8SequenceIJLi4ELi64ELi1EEEENSC_IJLi1ELi0ELi2EEEESE_Li2ELi16ELi16ELb0ELi1ESD_SE_SE_Li2ELi8ELi8ELb0ELi1ELi1ELi1ENSC_IJLi1ELi32ELi1ELi8EEEELi4ELNS_13LoopSchedulerE0ELNS_15PipelineVersionE0EaaEELb1EEEvNT_8ArgumentE
	.p2align	8
	.type	_ZN2ck27kernel_gemm_xdl_cshuffle_v1INS_43GridwiseGemm_k0mk1_k0nk1_mn_xdl_cshuffle_v1INS_13tensor_layout4gemm8RowMajorENS3_11ColumnMajorES4_aaiaaNS_16tensor_operation12element_wise11PassThroughES8_S8_LNS6_6device18GemmSpecializationE0ELNS_25InMemoryDataOperationEnumE0ELi1ELi256ELi256ELi128ELi64ELi16ELi16ELi16ELi16ELi8ELi4ENS_8SequenceIJLi4ELi64ELi1EEEENSC_IJLi1ELi0ELi2EEEESE_Li2ELi16ELi16ELb0ELi1ESD_SE_SE_Li2ELi8ELi8ELb0ELi1ELi1ELi1ENSC_IJLi1ELi32ELi1ELi8EEEELi4ELNS_13LoopSchedulerE0ELNS_15PipelineVersionE0EaaEELb1EEEvNT_8ArgumentE,@function
_ZN2ck27kernel_gemm_xdl_cshuffle_v1INS_43GridwiseGemm_k0mk1_k0nk1_mn_xdl_cshuffle_v1INS_13tensor_layout4gemm8RowMajorENS3_11ColumnMajorES4_aaiaaNS_16tensor_operation12element_wise11PassThroughES8_S8_LNS6_6device18GemmSpecializationE0ELNS_25InMemoryDataOperationEnumE0ELi1ELi256ELi256ELi128ELi64ELi16ELi16ELi16ELi16ELi8ELi4ENS_8SequenceIJLi4ELi64ELi1EEEENSC_IJLi1ELi0ELi2EEEESE_Li2ELi16ELi16ELb0ELi1ESD_SE_SE_Li2ELi8ELi8ELb0ELi1ELi1ELi1ENSC_IJLi1ELi32ELi1ELi8EEEELi4ELNS_13LoopSchedulerE0ELNS_15PipelineVersionE0EaaEELb1EEEvNT_8ArgumentE: ; @_ZN2ck27kernel_gemm_xdl_cshuffle_v1INS_43GridwiseGemm_k0mk1_k0nk1_mn_xdl_cshuffle_v1INS_13tensor_layout4gemm8RowMajorENS3_11ColumnMajorES4_aaiaaNS_16tensor_operation12element_wise11PassThroughES8_S8_LNS6_6device18GemmSpecializationE0ELNS_25InMemoryDataOperationEnumE0ELi1ELi256ELi256ELi128ELi64ELi16ELi16ELi16ELi16ELi8ELi4ENS_8SequenceIJLi4ELi64ELi1EEEENSC_IJLi1ELi0ELi2EEEESE_Li2ELi16ELi16ELb0ELi1ESD_SE_SE_Li2ELi8ELi8ELb0ELi1ELi1ELi1ENSC_IJLi1ELi32ELi1ELi8EEEELi4ELNS_13LoopSchedulerE0ELNS_15PipelineVersionE0EaaEELb1EEEvNT_8ArgumentE
; %bb.0:
	s_endpgm
	.section	.rodata,"a",@progbits
	.p2align	6, 0x0
	.amdhsa_kernel _ZN2ck27kernel_gemm_xdl_cshuffle_v1INS_43GridwiseGemm_k0mk1_k0nk1_mn_xdl_cshuffle_v1INS_13tensor_layout4gemm8RowMajorENS3_11ColumnMajorES4_aaiaaNS_16tensor_operation12element_wise11PassThroughES8_S8_LNS6_6device18GemmSpecializationE0ELNS_25InMemoryDataOperationEnumE0ELi1ELi256ELi256ELi128ELi64ELi16ELi16ELi16ELi16ELi8ELi4ENS_8SequenceIJLi4ELi64ELi1EEEENSC_IJLi1ELi0ELi2EEEESE_Li2ELi16ELi16ELb0ELi1ESD_SE_SE_Li2ELi8ELi8ELb0ELi1ELi1ELi1ENSC_IJLi1ELi32ELi1ELi8EEEELi4ELNS_13LoopSchedulerE0ELNS_15PipelineVersionE0EaaEELb1EEEvNT_8ArgumentE
		.amdhsa_group_segment_fixed_size 0
		.amdhsa_private_segment_fixed_size 0
		.amdhsa_kernarg_size 96
		.amdhsa_user_sgpr_count 15
		.amdhsa_user_sgpr_dispatch_ptr 0
		.amdhsa_user_sgpr_queue_ptr 0
		.amdhsa_user_sgpr_kernarg_segment_ptr 1
		.amdhsa_user_sgpr_dispatch_id 0
		.amdhsa_user_sgpr_private_segment_size 0
		.amdhsa_wavefront_size32 1
		.amdhsa_uses_dynamic_stack 0
		.amdhsa_enable_private_segment 0
		.amdhsa_system_sgpr_workgroup_id_x 1
		.amdhsa_system_sgpr_workgroup_id_y 0
		.amdhsa_system_sgpr_workgroup_id_z 0
		.amdhsa_system_sgpr_workgroup_info 0
		.amdhsa_system_vgpr_workitem_id 0
		.amdhsa_next_free_vgpr 1
		.amdhsa_next_free_sgpr 1
		.amdhsa_reserve_vcc 0
		.amdhsa_float_round_mode_32 0
		.amdhsa_float_round_mode_16_64 0
		.amdhsa_float_denorm_mode_32 3
		.amdhsa_float_denorm_mode_16_64 3
		.amdhsa_dx10_clamp 1
		.amdhsa_ieee_mode 1
		.amdhsa_fp16_overflow 0
		.amdhsa_workgroup_processor_mode 1
		.amdhsa_memory_ordered 1
		.amdhsa_forward_progress 0
		.amdhsa_shared_vgpr_count 0
		.amdhsa_exception_fp_ieee_invalid_op 0
		.amdhsa_exception_fp_denorm_src 0
		.amdhsa_exception_fp_ieee_div_zero 0
		.amdhsa_exception_fp_ieee_overflow 0
		.amdhsa_exception_fp_ieee_underflow 0
		.amdhsa_exception_fp_ieee_inexact 0
		.amdhsa_exception_int_div_zero 0
	.end_amdhsa_kernel
	.section	.text._ZN2ck27kernel_gemm_xdl_cshuffle_v1INS_43GridwiseGemm_k0mk1_k0nk1_mn_xdl_cshuffle_v1INS_13tensor_layout4gemm8RowMajorENS3_11ColumnMajorES4_aaiaaNS_16tensor_operation12element_wise11PassThroughES8_S8_LNS6_6device18GemmSpecializationE0ELNS_25InMemoryDataOperationEnumE0ELi1ELi256ELi256ELi128ELi64ELi16ELi16ELi16ELi16ELi8ELi4ENS_8SequenceIJLi4ELi64ELi1EEEENSC_IJLi1ELi0ELi2EEEESE_Li2ELi16ELi16ELb0ELi1ESD_SE_SE_Li2ELi8ELi8ELb0ELi1ELi1ELi1ENSC_IJLi1ELi32ELi1ELi8EEEELi4ELNS_13LoopSchedulerE0ELNS_15PipelineVersionE0EaaEELb1EEEvNT_8ArgumentE,"axG",@progbits,_ZN2ck27kernel_gemm_xdl_cshuffle_v1INS_43GridwiseGemm_k0mk1_k0nk1_mn_xdl_cshuffle_v1INS_13tensor_layout4gemm8RowMajorENS3_11ColumnMajorES4_aaiaaNS_16tensor_operation12element_wise11PassThroughES8_S8_LNS6_6device18GemmSpecializationE0ELNS_25InMemoryDataOperationEnumE0ELi1ELi256ELi256ELi128ELi64ELi16ELi16ELi16ELi16ELi8ELi4ENS_8SequenceIJLi4ELi64ELi1EEEENSC_IJLi1ELi0ELi2EEEESE_Li2ELi16ELi16ELb0ELi1ESD_SE_SE_Li2ELi8ELi8ELb0ELi1ELi1ELi1ENSC_IJLi1ELi32ELi1ELi8EEEELi4ELNS_13LoopSchedulerE0ELNS_15PipelineVersionE0EaaEELb1EEEvNT_8ArgumentE,comdat
.Lfunc_end1:
	.size	_ZN2ck27kernel_gemm_xdl_cshuffle_v1INS_43GridwiseGemm_k0mk1_k0nk1_mn_xdl_cshuffle_v1INS_13tensor_layout4gemm8RowMajorENS3_11ColumnMajorES4_aaiaaNS_16tensor_operation12element_wise11PassThroughES8_S8_LNS6_6device18GemmSpecializationE0ELNS_25InMemoryDataOperationEnumE0ELi1ELi256ELi256ELi128ELi64ELi16ELi16ELi16ELi16ELi8ELi4ENS_8SequenceIJLi4ELi64ELi1EEEENSC_IJLi1ELi0ELi2EEEESE_Li2ELi16ELi16ELb0ELi1ESD_SE_SE_Li2ELi8ELi8ELb0ELi1ELi1ELi1ENSC_IJLi1ELi32ELi1ELi8EEEELi4ELNS_13LoopSchedulerE0ELNS_15PipelineVersionE0EaaEELb1EEEvNT_8ArgumentE, .Lfunc_end1-_ZN2ck27kernel_gemm_xdl_cshuffle_v1INS_43GridwiseGemm_k0mk1_k0nk1_mn_xdl_cshuffle_v1INS_13tensor_layout4gemm8RowMajorENS3_11ColumnMajorES4_aaiaaNS_16tensor_operation12element_wise11PassThroughES8_S8_LNS6_6device18GemmSpecializationE0ELNS_25InMemoryDataOperationEnumE0ELi1ELi256ELi256ELi128ELi64ELi16ELi16ELi16ELi16ELi8ELi4ENS_8SequenceIJLi4ELi64ELi1EEEENSC_IJLi1ELi0ELi2EEEESE_Li2ELi16ELi16ELb0ELi1ESD_SE_SE_Li2ELi8ELi8ELb0ELi1ELi1ELi1ENSC_IJLi1ELi32ELi1ELi8EEEELi4ELNS_13LoopSchedulerE0ELNS_15PipelineVersionE0EaaEELb1EEEvNT_8ArgumentE
                                        ; -- End function
	.section	.AMDGPU.csdata,"",@progbits
; Kernel info:
; codeLenInByte = 4
; NumSgprs: 0
; NumVgprs: 0
; ScratchSize: 0
; MemoryBound: 0
; FloatMode: 240
; IeeeMode: 1
; LDSByteSize: 0 bytes/workgroup (compile time only)
; SGPRBlocks: 0
; VGPRBlocks: 0
; NumSGPRsForWavesPerEU: 1
; NumVGPRsForWavesPerEU: 1
; Occupancy: 16
; WaveLimiterHint : 0
; COMPUTE_PGM_RSRC2:SCRATCH_EN: 0
; COMPUTE_PGM_RSRC2:USER_SGPR: 15
; COMPUTE_PGM_RSRC2:TRAP_HANDLER: 0
; COMPUTE_PGM_RSRC2:TGID_X_EN: 1
; COMPUTE_PGM_RSRC2:TGID_Y_EN: 0
; COMPUTE_PGM_RSRC2:TGID_Z_EN: 0
; COMPUTE_PGM_RSRC2:TIDIG_COMP_CNT: 0
	.section	.text._ZN2ck27kernel_gemm_xdl_cshuffle_v1INS_43GridwiseGemm_k0mk1_k0nk1_mn_xdl_cshuffle_v1INS_13tensor_layout4gemm8RowMajorENS3_11ColumnMajorES4_aaiaaNS_16tensor_operation12element_wise11PassThroughES8_S8_LNS6_6device18GemmSpecializationE0ELNS_25InMemoryDataOperationEnumE0ELi1ELi256ELi256ELi128ELi64ELi16ELi16ELi16ELi16ELi8ELi4ENS_8SequenceIJLi4ELi64ELi1EEEENSC_IJLi1ELi0ELi2EEEESE_Li2ELi16ELi16ELb0ELi1ESD_SE_SE_Li2ELi8ELi8ELb0ELi1ELi1ELi1ENSC_IJLi1ELi32ELi1ELi8EEEELi4ELNS_13LoopSchedulerE0ELNS_15PipelineVersionE0EaaEELb0EEEvNT_8ArgumentE,"axG",@progbits,_ZN2ck27kernel_gemm_xdl_cshuffle_v1INS_43GridwiseGemm_k0mk1_k0nk1_mn_xdl_cshuffle_v1INS_13tensor_layout4gemm8RowMajorENS3_11ColumnMajorES4_aaiaaNS_16tensor_operation12element_wise11PassThroughES8_S8_LNS6_6device18GemmSpecializationE0ELNS_25InMemoryDataOperationEnumE0ELi1ELi256ELi256ELi128ELi64ELi16ELi16ELi16ELi16ELi8ELi4ENS_8SequenceIJLi4ELi64ELi1EEEENSC_IJLi1ELi0ELi2EEEESE_Li2ELi16ELi16ELb0ELi1ESD_SE_SE_Li2ELi8ELi8ELb0ELi1ELi1ELi1ENSC_IJLi1ELi32ELi1ELi8EEEELi4ELNS_13LoopSchedulerE0ELNS_15PipelineVersionE0EaaEELb0EEEvNT_8ArgumentE,comdat
	.protected	_ZN2ck27kernel_gemm_xdl_cshuffle_v1INS_43GridwiseGemm_k0mk1_k0nk1_mn_xdl_cshuffle_v1INS_13tensor_layout4gemm8RowMajorENS3_11ColumnMajorES4_aaiaaNS_16tensor_operation12element_wise11PassThroughES8_S8_LNS6_6device18GemmSpecializationE0ELNS_25InMemoryDataOperationEnumE0ELi1ELi256ELi256ELi128ELi64ELi16ELi16ELi16ELi16ELi8ELi4ENS_8SequenceIJLi4ELi64ELi1EEEENSC_IJLi1ELi0ELi2EEEESE_Li2ELi16ELi16ELb0ELi1ESD_SE_SE_Li2ELi8ELi8ELb0ELi1ELi1ELi1ENSC_IJLi1ELi32ELi1ELi8EEEELi4ELNS_13LoopSchedulerE0ELNS_15PipelineVersionE0EaaEELb0EEEvNT_8ArgumentE ; -- Begin function _ZN2ck27kernel_gemm_xdl_cshuffle_v1INS_43GridwiseGemm_k0mk1_k0nk1_mn_xdl_cshuffle_v1INS_13tensor_layout4gemm8RowMajorENS3_11ColumnMajorES4_aaiaaNS_16tensor_operation12element_wise11PassThroughES8_S8_LNS6_6device18GemmSpecializationE0ELNS_25InMemoryDataOperationEnumE0ELi1ELi256ELi256ELi128ELi64ELi16ELi16ELi16ELi16ELi8ELi4ENS_8SequenceIJLi4ELi64ELi1EEEENSC_IJLi1ELi0ELi2EEEESE_Li2ELi16ELi16ELb0ELi1ESD_SE_SE_Li2ELi8ELi8ELb0ELi1ELi1ELi1ENSC_IJLi1ELi32ELi1ELi8EEEELi4ELNS_13LoopSchedulerE0ELNS_15PipelineVersionE0EaaEELb0EEEvNT_8ArgumentE
	.globl	_ZN2ck27kernel_gemm_xdl_cshuffle_v1INS_43GridwiseGemm_k0mk1_k0nk1_mn_xdl_cshuffle_v1INS_13tensor_layout4gemm8RowMajorENS3_11ColumnMajorES4_aaiaaNS_16tensor_operation12element_wise11PassThroughES8_S8_LNS6_6device18GemmSpecializationE0ELNS_25InMemoryDataOperationEnumE0ELi1ELi256ELi256ELi128ELi64ELi16ELi16ELi16ELi16ELi8ELi4ENS_8SequenceIJLi4ELi64ELi1EEEENSC_IJLi1ELi0ELi2EEEESE_Li2ELi16ELi16ELb0ELi1ESD_SE_SE_Li2ELi8ELi8ELb0ELi1ELi1ELi1ENSC_IJLi1ELi32ELi1ELi8EEEELi4ELNS_13LoopSchedulerE0ELNS_15PipelineVersionE0EaaEELb0EEEvNT_8ArgumentE
	.p2align	8
	.type	_ZN2ck27kernel_gemm_xdl_cshuffle_v1INS_43GridwiseGemm_k0mk1_k0nk1_mn_xdl_cshuffle_v1INS_13tensor_layout4gemm8RowMajorENS3_11ColumnMajorES4_aaiaaNS_16tensor_operation12element_wise11PassThroughES8_S8_LNS6_6device18GemmSpecializationE0ELNS_25InMemoryDataOperationEnumE0ELi1ELi256ELi256ELi128ELi64ELi16ELi16ELi16ELi16ELi8ELi4ENS_8SequenceIJLi4ELi64ELi1EEEENSC_IJLi1ELi0ELi2EEEESE_Li2ELi16ELi16ELb0ELi1ESD_SE_SE_Li2ELi8ELi8ELb0ELi1ELi1ELi1ENSC_IJLi1ELi32ELi1ELi8EEEELi4ELNS_13LoopSchedulerE0ELNS_15PipelineVersionE0EaaEELb0EEEvNT_8ArgumentE,@function
_ZN2ck27kernel_gemm_xdl_cshuffle_v1INS_43GridwiseGemm_k0mk1_k0nk1_mn_xdl_cshuffle_v1INS_13tensor_layout4gemm8RowMajorENS3_11ColumnMajorES4_aaiaaNS_16tensor_operation12element_wise11PassThroughES8_S8_LNS6_6device18GemmSpecializationE0ELNS_25InMemoryDataOperationEnumE0ELi1ELi256ELi256ELi128ELi64ELi16ELi16ELi16ELi16ELi8ELi4ENS_8SequenceIJLi4ELi64ELi1EEEENSC_IJLi1ELi0ELi2EEEESE_Li2ELi16ELi16ELb0ELi1ESD_SE_SE_Li2ELi8ELi8ELb0ELi1ELi1ELi1ENSC_IJLi1ELi32ELi1ELi8EEEELi4ELNS_13LoopSchedulerE0ELNS_15PipelineVersionE0EaaEELb0EEEvNT_8ArgumentE: ; @_ZN2ck27kernel_gemm_xdl_cshuffle_v1INS_43GridwiseGemm_k0mk1_k0nk1_mn_xdl_cshuffle_v1INS_13tensor_layout4gemm8RowMajorENS3_11ColumnMajorES4_aaiaaNS_16tensor_operation12element_wise11PassThroughES8_S8_LNS6_6device18GemmSpecializationE0ELNS_25InMemoryDataOperationEnumE0ELi1ELi256ELi256ELi128ELi64ELi16ELi16ELi16ELi16ELi8ELi4ENS_8SequenceIJLi4ELi64ELi1EEEENSC_IJLi1ELi0ELi2EEEESE_Li2ELi16ELi16ELb0ELi1ESD_SE_SE_Li2ELi8ELi8ELb0ELi1ELi1ELi1ENSC_IJLi1ELi32ELi1ELi8EEEELi4ELNS_13LoopSchedulerE0ELNS_15PipelineVersionE0EaaEELb0EEEvNT_8ArgumentE
; %bb.0:
	s_endpgm
	.section	.rodata,"a",@progbits
	.p2align	6, 0x0
	.amdhsa_kernel _ZN2ck27kernel_gemm_xdl_cshuffle_v1INS_43GridwiseGemm_k0mk1_k0nk1_mn_xdl_cshuffle_v1INS_13tensor_layout4gemm8RowMajorENS3_11ColumnMajorES4_aaiaaNS_16tensor_operation12element_wise11PassThroughES8_S8_LNS6_6device18GemmSpecializationE0ELNS_25InMemoryDataOperationEnumE0ELi1ELi256ELi256ELi128ELi64ELi16ELi16ELi16ELi16ELi8ELi4ENS_8SequenceIJLi4ELi64ELi1EEEENSC_IJLi1ELi0ELi2EEEESE_Li2ELi16ELi16ELb0ELi1ESD_SE_SE_Li2ELi8ELi8ELb0ELi1ELi1ELi1ENSC_IJLi1ELi32ELi1ELi8EEEELi4ELNS_13LoopSchedulerE0ELNS_15PipelineVersionE0EaaEELb0EEEvNT_8ArgumentE
		.amdhsa_group_segment_fixed_size 0
		.amdhsa_private_segment_fixed_size 0
		.amdhsa_kernarg_size 96
		.amdhsa_user_sgpr_count 15
		.amdhsa_user_sgpr_dispatch_ptr 0
		.amdhsa_user_sgpr_queue_ptr 0
		.amdhsa_user_sgpr_kernarg_segment_ptr 1
		.amdhsa_user_sgpr_dispatch_id 0
		.amdhsa_user_sgpr_private_segment_size 0
		.amdhsa_wavefront_size32 1
		.amdhsa_uses_dynamic_stack 0
		.amdhsa_enable_private_segment 0
		.amdhsa_system_sgpr_workgroup_id_x 1
		.amdhsa_system_sgpr_workgroup_id_y 0
		.amdhsa_system_sgpr_workgroup_id_z 0
		.amdhsa_system_sgpr_workgroup_info 0
		.amdhsa_system_vgpr_workitem_id 0
		.amdhsa_next_free_vgpr 1
		.amdhsa_next_free_sgpr 1
		.amdhsa_reserve_vcc 0
		.amdhsa_float_round_mode_32 0
		.amdhsa_float_round_mode_16_64 0
		.amdhsa_float_denorm_mode_32 3
		.amdhsa_float_denorm_mode_16_64 3
		.amdhsa_dx10_clamp 1
		.amdhsa_ieee_mode 1
		.amdhsa_fp16_overflow 0
		.amdhsa_workgroup_processor_mode 1
		.amdhsa_memory_ordered 1
		.amdhsa_forward_progress 0
		.amdhsa_shared_vgpr_count 0
		.amdhsa_exception_fp_ieee_invalid_op 0
		.amdhsa_exception_fp_denorm_src 0
		.amdhsa_exception_fp_ieee_div_zero 0
		.amdhsa_exception_fp_ieee_overflow 0
		.amdhsa_exception_fp_ieee_underflow 0
		.amdhsa_exception_fp_ieee_inexact 0
		.amdhsa_exception_int_div_zero 0
	.end_amdhsa_kernel
	.section	.text._ZN2ck27kernel_gemm_xdl_cshuffle_v1INS_43GridwiseGemm_k0mk1_k0nk1_mn_xdl_cshuffle_v1INS_13tensor_layout4gemm8RowMajorENS3_11ColumnMajorES4_aaiaaNS_16tensor_operation12element_wise11PassThroughES8_S8_LNS6_6device18GemmSpecializationE0ELNS_25InMemoryDataOperationEnumE0ELi1ELi256ELi256ELi128ELi64ELi16ELi16ELi16ELi16ELi8ELi4ENS_8SequenceIJLi4ELi64ELi1EEEENSC_IJLi1ELi0ELi2EEEESE_Li2ELi16ELi16ELb0ELi1ESD_SE_SE_Li2ELi8ELi8ELb0ELi1ELi1ELi1ENSC_IJLi1ELi32ELi1ELi8EEEELi4ELNS_13LoopSchedulerE0ELNS_15PipelineVersionE0EaaEELb0EEEvNT_8ArgumentE,"axG",@progbits,_ZN2ck27kernel_gemm_xdl_cshuffle_v1INS_43GridwiseGemm_k0mk1_k0nk1_mn_xdl_cshuffle_v1INS_13tensor_layout4gemm8RowMajorENS3_11ColumnMajorES4_aaiaaNS_16tensor_operation12element_wise11PassThroughES8_S8_LNS6_6device18GemmSpecializationE0ELNS_25InMemoryDataOperationEnumE0ELi1ELi256ELi256ELi128ELi64ELi16ELi16ELi16ELi16ELi8ELi4ENS_8SequenceIJLi4ELi64ELi1EEEENSC_IJLi1ELi0ELi2EEEESE_Li2ELi16ELi16ELb0ELi1ESD_SE_SE_Li2ELi8ELi8ELb0ELi1ELi1ELi1ENSC_IJLi1ELi32ELi1ELi8EEEELi4ELNS_13LoopSchedulerE0ELNS_15PipelineVersionE0EaaEELb0EEEvNT_8ArgumentE,comdat
.Lfunc_end2:
	.size	_ZN2ck27kernel_gemm_xdl_cshuffle_v1INS_43GridwiseGemm_k0mk1_k0nk1_mn_xdl_cshuffle_v1INS_13tensor_layout4gemm8RowMajorENS3_11ColumnMajorES4_aaiaaNS_16tensor_operation12element_wise11PassThroughES8_S8_LNS6_6device18GemmSpecializationE0ELNS_25InMemoryDataOperationEnumE0ELi1ELi256ELi256ELi128ELi64ELi16ELi16ELi16ELi16ELi8ELi4ENS_8SequenceIJLi4ELi64ELi1EEEENSC_IJLi1ELi0ELi2EEEESE_Li2ELi16ELi16ELb0ELi1ESD_SE_SE_Li2ELi8ELi8ELb0ELi1ELi1ELi1ENSC_IJLi1ELi32ELi1ELi8EEEELi4ELNS_13LoopSchedulerE0ELNS_15PipelineVersionE0EaaEELb0EEEvNT_8ArgumentE, .Lfunc_end2-_ZN2ck27kernel_gemm_xdl_cshuffle_v1INS_43GridwiseGemm_k0mk1_k0nk1_mn_xdl_cshuffle_v1INS_13tensor_layout4gemm8RowMajorENS3_11ColumnMajorES4_aaiaaNS_16tensor_operation12element_wise11PassThroughES8_S8_LNS6_6device18GemmSpecializationE0ELNS_25InMemoryDataOperationEnumE0ELi1ELi256ELi256ELi128ELi64ELi16ELi16ELi16ELi16ELi8ELi4ENS_8SequenceIJLi4ELi64ELi1EEEENSC_IJLi1ELi0ELi2EEEESE_Li2ELi16ELi16ELb0ELi1ESD_SE_SE_Li2ELi8ELi8ELb0ELi1ELi1ELi1ENSC_IJLi1ELi32ELi1ELi8EEEELi4ELNS_13LoopSchedulerE0ELNS_15PipelineVersionE0EaaEELb0EEEvNT_8ArgumentE
                                        ; -- End function
	.section	.AMDGPU.csdata,"",@progbits
; Kernel info:
; codeLenInByte = 4
; NumSgprs: 0
; NumVgprs: 0
; ScratchSize: 0
; MemoryBound: 0
; FloatMode: 240
; IeeeMode: 1
; LDSByteSize: 0 bytes/workgroup (compile time only)
; SGPRBlocks: 0
; VGPRBlocks: 0
; NumSGPRsForWavesPerEU: 1
; NumVGPRsForWavesPerEU: 1
; Occupancy: 16
; WaveLimiterHint : 0
; COMPUTE_PGM_RSRC2:SCRATCH_EN: 0
; COMPUTE_PGM_RSRC2:USER_SGPR: 15
; COMPUTE_PGM_RSRC2:TRAP_HANDLER: 0
; COMPUTE_PGM_RSRC2:TGID_X_EN: 1
; COMPUTE_PGM_RSRC2:TGID_Y_EN: 0
; COMPUTE_PGM_RSRC2:TGID_Z_EN: 0
; COMPUTE_PGM_RSRC2:TIDIG_COMP_CNT: 0
	.section	.text._ZN2ck27kernel_gemm_xdl_cshuffle_v1INS_43GridwiseGemm_k0mk1_k0nk1_mn_xdl_cshuffle_v1INS_13tensor_layout4gemm8RowMajorENS3_11ColumnMajorES4_aaiaaNS_16tensor_operation12element_wise11PassThroughES8_S8_LNS6_6device18GemmSpecializationE0ELNS_25InMemoryDataOperationEnumE0ELi1ELi256ELi256ELi128ELi64ELi16ELi16ELi16ELi16ELi8ELi2ENS_8SequenceIJLi4ELi64ELi1EEEENSC_IJLi1ELi0ELi2EEEESE_Li2ELi16ELi16ELb0ELi1ESD_SE_SE_Li2ELi8ELi8ELb0ELi1ELi1ELi1ENSC_IJLi1ELi32ELi1ELi8EEEELi4ELNS_13LoopSchedulerE0ELNS_15PipelineVersionE0EaaEELb1EEEvNT_8ArgumentE,"axG",@progbits,_ZN2ck27kernel_gemm_xdl_cshuffle_v1INS_43GridwiseGemm_k0mk1_k0nk1_mn_xdl_cshuffle_v1INS_13tensor_layout4gemm8RowMajorENS3_11ColumnMajorES4_aaiaaNS_16tensor_operation12element_wise11PassThroughES8_S8_LNS6_6device18GemmSpecializationE0ELNS_25InMemoryDataOperationEnumE0ELi1ELi256ELi256ELi128ELi64ELi16ELi16ELi16ELi16ELi8ELi2ENS_8SequenceIJLi4ELi64ELi1EEEENSC_IJLi1ELi0ELi2EEEESE_Li2ELi16ELi16ELb0ELi1ESD_SE_SE_Li2ELi8ELi8ELb0ELi1ELi1ELi1ENSC_IJLi1ELi32ELi1ELi8EEEELi4ELNS_13LoopSchedulerE0ELNS_15PipelineVersionE0EaaEELb1EEEvNT_8ArgumentE,comdat
	.protected	_ZN2ck27kernel_gemm_xdl_cshuffle_v1INS_43GridwiseGemm_k0mk1_k0nk1_mn_xdl_cshuffle_v1INS_13tensor_layout4gemm8RowMajorENS3_11ColumnMajorES4_aaiaaNS_16tensor_operation12element_wise11PassThroughES8_S8_LNS6_6device18GemmSpecializationE0ELNS_25InMemoryDataOperationEnumE0ELi1ELi256ELi256ELi128ELi64ELi16ELi16ELi16ELi16ELi8ELi2ENS_8SequenceIJLi4ELi64ELi1EEEENSC_IJLi1ELi0ELi2EEEESE_Li2ELi16ELi16ELb0ELi1ESD_SE_SE_Li2ELi8ELi8ELb0ELi1ELi1ELi1ENSC_IJLi1ELi32ELi1ELi8EEEELi4ELNS_13LoopSchedulerE0ELNS_15PipelineVersionE0EaaEELb1EEEvNT_8ArgumentE ; -- Begin function _ZN2ck27kernel_gemm_xdl_cshuffle_v1INS_43GridwiseGemm_k0mk1_k0nk1_mn_xdl_cshuffle_v1INS_13tensor_layout4gemm8RowMajorENS3_11ColumnMajorES4_aaiaaNS_16tensor_operation12element_wise11PassThroughES8_S8_LNS6_6device18GemmSpecializationE0ELNS_25InMemoryDataOperationEnumE0ELi1ELi256ELi256ELi128ELi64ELi16ELi16ELi16ELi16ELi8ELi2ENS_8SequenceIJLi4ELi64ELi1EEEENSC_IJLi1ELi0ELi2EEEESE_Li2ELi16ELi16ELb0ELi1ESD_SE_SE_Li2ELi8ELi8ELb0ELi1ELi1ELi1ENSC_IJLi1ELi32ELi1ELi8EEEELi4ELNS_13LoopSchedulerE0ELNS_15PipelineVersionE0EaaEELb1EEEvNT_8ArgumentE
	.globl	_ZN2ck27kernel_gemm_xdl_cshuffle_v1INS_43GridwiseGemm_k0mk1_k0nk1_mn_xdl_cshuffle_v1INS_13tensor_layout4gemm8RowMajorENS3_11ColumnMajorES4_aaiaaNS_16tensor_operation12element_wise11PassThroughES8_S8_LNS6_6device18GemmSpecializationE0ELNS_25InMemoryDataOperationEnumE0ELi1ELi256ELi256ELi128ELi64ELi16ELi16ELi16ELi16ELi8ELi2ENS_8SequenceIJLi4ELi64ELi1EEEENSC_IJLi1ELi0ELi2EEEESE_Li2ELi16ELi16ELb0ELi1ESD_SE_SE_Li2ELi8ELi8ELb0ELi1ELi1ELi1ENSC_IJLi1ELi32ELi1ELi8EEEELi4ELNS_13LoopSchedulerE0ELNS_15PipelineVersionE0EaaEELb1EEEvNT_8ArgumentE
	.p2align	8
	.type	_ZN2ck27kernel_gemm_xdl_cshuffle_v1INS_43GridwiseGemm_k0mk1_k0nk1_mn_xdl_cshuffle_v1INS_13tensor_layout4gemm8RowMajorENS3_11ColumnMajorES4_aaiaaNS_16tensor_operation12element_wise11PassThroughES8_S8_LNS6_6device18GemmSpecializationE0ELNS_25InMemoryDataOperationEnumE0ELi1ELi256ELi256ELi128ELi64ELi16ELi16ELi16ELi16ELi8ELi2ENS_8SequenceIJLi4ELi64ELi1EEEENSC_IJLi1ELi0ELi2EEEESE_Li2ELi16ELi16ELb0ELi1ESD_SE_SE_Li2ELi8ELi8ELb0ELi1ELi1ELi1ENSC_IJLi1ELi32ELi1ELi8EEEELi4ELNS_13LoopSchedulerE0ELNS_15PipelineVersionE0EaaEELb1EEEvNT_8ArgumentE,@function
_ZN2ck27kernel_gemm_xdl_cshuffle_v1INS_43GridwiseGemm_k0mk1_k0nk1_mn_xdl_cshuffle_v1INS_13tensor_layout4gemm8RowMajorENS3_11ColumnMajorES4_aaiaaNS_16tensor_operation12element_wise11PassThroughES8_S8_LNS6_6device18GemmSpecializationE0ELNS_25InMemoryDataOperationEnumE0ELi1ELi256ELi256ELi128ELi64ELi16ELi16ELi16ELi16ELi8ELi2ENS_8SequenceIJLi4ELi64ELi1EEEENSC_IJLi1ELi0ELi2EEEESE_Li2ELi16ELi16ELb0ELi1ESD_SE_SE_Li2ELi8ELi8ELb0ELi1ELi1ELi1ENSC_IJLi1ELi32ELi1ELi8EEEELi4ELNS_13LoopSchedulerE0ELNS_15PipelineVersionE0EaaEELb1EEEvNT_8ArgumentE: ; @_ZN2ck27kernel_gemm_xdl_cshuffle_v1INS_43GridwiseGemm_k0mk1_k0nk1_mn_xdl_cshuffle_v1INS_13tensor_layout4gemm8RowMajorENS3_11ColumnMajorES4_aaiaaNS_16tensor_operation12element_wise11PassThroughES8_S8_LNS6_6device18GemmSpecializationE0ELNS_25InMemoryDataOperationEnumE0ELi1ELi256ELi256ELi128ELi64ELi16ELi16ELi16ELi16ELi8ELi2ENS_8SequenceIJLi4ELi64ELi1EEEENSC_IJLi1ELi0ELi2EEEESE_Li2ELi16ELi16ELb0ELi1ESD_SE_SE_Li2ELi8ELi8ELb0ELi1ELi1ELi1ENSC_IJLi1ELi32ELi1ELi8EEEELi4ELNS_13LoopSchedulerE0ELNS_15PipelineVersionE0EaaEELb1EEEvNT_8ArgumentE
; %bb.0:
	s_clause 0x1
	s_load_b128 s[4:7], s[0:1], 0x10
	s_load_b64 s[20:21], s[0:1], 0x20
	s_add_u32 s2, 0, 0
	v_lshrrev_b32_e32 v134, 3, v0
	v_mov_b32_e32 v9, 0
	v_lshrrev_b32_e32 v132, 1, v0
	v_bfe_u32 v139, v0, 1, 3
	v_and_b32_e32 v138, 3, v0
	v_and_b32_e32 v142, 16, v134
	v_dual_mov_b32 v10, v9 :: v_dual_and_b32 v129, 0xfc, v0
	v_dual_mov_b32 v12, v9 :: v_dual_and_b32 v131, 0x7e, v132
	v_lshlrev_b32_e32 v133, 3, v0
	v_dual_mov_b32 v8, v9 :: v_dual_and_b32 v135, 15, v0
	v_mov_b32_e32 v18, v9
	v_mov_b32_e32 v22, v9
	;; [unrolled: 1-line block ×3, first 2 shown]
	s_delay_alu instid0(VALU_DEP_4)
	v_lshlrev_b32_e32 v169, 4, v135
	s_waitcnt lgkmcnt(0)
	s_addc_u32 s3, s4, -1
	s_add_u32 s8, 0, 0
	s_addc_u32 s10, s5, -1
	s_addk_i32 s4, 0xff
	s_add_i32 s8, s5, 0x7f
	s_ashr_i32 s9, s4, 31
	s_ashr_i32 s11, s8, 31
	s_lshr_b32 s9, s9, 24
	s_lshr_b32 s11, s11, 25
	s_add_i32 s4, s4, s9
	s_add_i32 s8, s8, s11
	s_ashr_i32 s4, s4, 8
	s_ashr_i32 s8, s8, 7
	s_abs_i32 s13, s15
	s_mul_i32 s9, s8, s4
	v_mov_b32_e32 v19, v9
	s_abs_i32 s9, s9
	v_mov_b32_e32 v21, v9
	v_cvt_f32_u32_e32 v1, s9
	s_sub_i32 s12, 0, s9
	v_mov_b32_e32 v23, v9
	v_mov_b32_e32 v25, v9
	;; [unrolled: 1-line block ×3, first 2 shown]
	v_rcp_iflag_f32_e32 v1, v1
	v_mov_b32_e32 v29, v9
	v_mov_b32_e32 v31, v9
	;; [unrolled: 1-line block ×9, first 2 shown]
	v_dual_mul_f32 v1, 0x4f7ffffe, v1 :: v_dual_mov_b32 v48, v9
	v_mov_b32_e32 v33, v9
	v_mul_u32_u24_e32 v140, 0x810, v138
	v_mul_u32_u24_e32 v168, 0x1010, v138
	s_delay_alu instid0(VALU_DEP_4)
	v_cvt_u32_f32_e32 v1, v1
	v_mov_b32_e32 v34, v9
	v_mov_b32_e32 v35, v9
	v_lshl_add_u32 v140, v131, 4, v140
	v_mov_b32_e32 v36, v9
	v_readfirstlane_b32 s11, v1
	v_mov_b32_e32 v37, v9
	v_mov_b32_e32 v38, v9
	;; [unrolled: 1-line block ×4, first 2 shown]
	s_mul_i32 s12, s12, s11
	v_mov_b32_e32 v49, v9
	s_mul_hi_u32 s12, s11, s12
	v_mov_b32_e32 v50, v9
	s_add_i32 s11, s11, s12
	s_ashr_i32 s12, s15, 31
	s_mul_hi_u32 s11, s13, s11
	v_mov_b32_e32 v51, v9
	s_mul_i32 s11, s11, s9
	v_mov_b32_e32 v52, v9
	s_sub_i32 s11, s13, s11
	v_mov_b32_e32 v53, v9
	s_sub_i32 s13, s11, s9
	s_cmp_ge_u32 s11, s9
	v_mov_b32_e32 v54, v9
	s_cselect_b32 s11, s13, s11
	v_mov_b32_e32 v55, v9
	s_sub_i32 s13, s11, s9
	s_cmp_ge_u32 s11, s9
	v_mov_b32_e32 v56, v9
	s_cselect_b32 s9, s13, s11
	s_abs_i32 s11, s8
	s_xor_b32 s9, s9, s12
	v_cvt_f32_u32_e32 v1, s11
	s_sub_i32 s14, 0, s11
	s_sub_i32 s9, s9, s12
	v_mov_b32_e32 v57, v9
	v_mov_b32_e32 v58, v9
	v_rcp_iflag_f32_e32 v1, v1
	v_mov_b32_e32 v59, v9
	v_mov_b32_e32 v60, v9
	;; [unrolled: 1-line block ×6, first 2 shown]
	v_dual_mov_b32 v73, v9 :: v_dual_lshlrev_b32 v136, 4, v138
	s_delay_alu instid0(TRANS32_DEP_1)
	v_dual_mov_b32 v74, v9 :: v_dual_mul_f32 v1, 0x4f7ffffe, v1
	v_mov_b32_e32 v75, v9
	v_mov_b32_e32 v76, v9
	;; [unrolled: 1-line block ×4, first 2 shown]
	v_cvt_u32_f32_e32 v1, v1
	v_mov_b32_e32 v79, v9
	v_mov_b32_e32 v80, v9
	;; [unrolled: 1-line block ×4, first 2 shown]
	v_readfirstlane_b32 s13, v1
	v_mov_b32_e32 v67, v9
	v_mov_b32_e32 v68, v9
	;; [unrolled: 1-line block ×4, first 2 shown]
	s_mul_i32 s14, s14, s13
	v_mov_b32_e32 v71, v9
	s_mul_hi_u32 s12, s13, s14
	s_abs_i32 s14, s9
	s_add_i32 s13, s13, s12
	v_mov_b32_e32 v72, v9
	s_mul_hi_u32 s12, s14, s13
	s_xor_b32 s13, s9, s8
	s_mul_i32 s15, s12, s11
	s_ashr_i32 s13, s13, 31
	s_sub_i32 s14, s14, s15
	s_add_i32 s15, s12, 1
	s_sub_i32 s16, s14, s11
	s_cmp_ge_u32 s14, s11
	v_mov_b32_e32 v81, v9
	s_cselect_b32 s12, s15, s12
	s_cselect_b32 s14, s16, s14
	s_add_i32 s15, s12, 1
	s_cmp_ge_u32 s14, s11
	v_mov_b32_e32 v82, v9
	s_cselect_b32 s11, s15, s12
	s_lshr_b32 s12, s4, 29
	s_xor_b32 s11, s11, s13
	s_add_i32 s12, s4, s12
	s_sub_i32 s11, s11, s13
	s_and_b32 s12, s12, -8
	s_mul_i32 s14, s11, s8
	s_sub_i32 s4, s4, s12
	s_cmp_ge_i32 s11, s12
	v_mov_b32_e32 v83, v9
	s_cselect_b32 s4, s4, 8
	s_ashr_i32 s13, s11, 31
	s_abs_i32 s12, s4
	s_lshr_b32 s13, s13, 29
	v_cvt_f32_u32_e32 v1, s12
	s_add_i32 s13, s11, s13
	s_sub_i32 s9, s9, s14
	s_and_b32 s13, s13, -8
	s_sub_i32 s14, 0, s12
	v_rcp_iflag_f32_e32 v1, v1
	s_sub_i32 s13, s11, s13
	v_mov_b32_e32 v84, v9
	s_mul_i32 s8, s13, s8
	v_mov_b32_e32 v85, v9
	s_add_i32 s8, s8, s9
	v_mov_b32_e32 v86, v9
	v_mov_b32_e32 v87, v9
	;; [unrolled: 1-line block ×4, first 2 shown]
	v_dual_mul_f32 v1, 0x4f7ffffe, v1 :: v_dual_mov_b32 v90, v9
	v_mov_b32_e32 v91, v9
	v_mov_b32_e32 v92, v9
	;; [unrolled: 1-line block ×3, first 2 shown]
	s_delay_alu instid0(VALU_DEP_4)
	v_cvt_u32_f32_e32 v1, v1
	v_mov_b32_e32 v94, v9
	v_mov_b32_e32 v95, v9
	;; [unrolled: 1-line block ×4, first 2 shown]
	v_readfirstlane_b32 s15, v1
	v_mov_b32_e32 v106, v9
	v_mov_b32_e32 v107, v9
	;; [unrolled: 1-line block ×4, first 2 shown]
	s_mul_i32 s14, s14, s15
	v_mov_b32_e32 v110, v9
	s_mul_hi_u32 s9, s15, s14
	s_abs_i32 s14, s8
	s_add_i32 s15, s15, s9
	v_mov_b32_e32 v111, v9
	s_mul_hi_u32 s9, s14, s15
	s_xor_b32 s15, s8, s4
	s_mul_i32 s16, s9, s12
	s_ashr_i32 s15, s15, 31
	s_sub_i32 s14, s14, s16
	s_add_i32 s16, s9, 1
	s_sub_i32 s17, s14, s12
	s_cmp_ge_u32 s14, s12
	v_mov_b32_e32 v112, v9
	s_cselect_b32 s9, s16, s9
	s_cselect_b32 s14, s17, s14
	s_add_i32 s16, s9, 1
	s_cmp_ge_u32 s14, s12
	s_mul_i32 s14, s3, s7
	s_cselect_b32 s9, s16, s9
	s_clause 0x1
	s_load_b128 s[16:19], s[0:1], 0x48
	s_load_b32 s23, s[0:1], 0x34
	s_xor_b32 s9, s9, s15
	v_mov_b32_e32 v14, v9
	s_sub_i32 s9, s9, s15
	s_load_b64 s[0:1], s[0:1], 0x58
	s_mul_i32 s4, s9, s4
	s_lshl_b32 s22, s9, 7
	s_sub_i32 s4, s8, s4
	v_add_nc_u32_e32 v1, s22, v131
	s_add_i32 s4, s4, s11
	v_mov_b32_e32 v11, v9
	s_sub_i32 s4, s4, s13
	s_mov_b32 s11, 0x31004000
	s_lshl_b32 s8, s4, 8
	v_mul_lo_u32 v137, v1, s20
	v_add_nc_u32_e32 v130, s8, v129
	s_mov_b32 s15, s11
	v_dual_mov_b32 v28, v9 :: v_dual_lshlrev_b32 v129, 4, v129
	s_waitcnt lgkmcnt(0)
	s_mov_b32 s8, s16
	v_mul_lo_u32 v143, v130, s7
	s_mov_b32 s9, s17
	v_add_nc_u32_e32 v3, v137, v136
	v_mov_b32_e32 v16, v9
	s_mul_i32 s16, s10, s20
	s_add_i32 s10, s6, s14
	s_mov_b32 s12, s18
	v_add_nc_u32_e32 v5, s20, v3
	v_add_nc_u32_e32 v1, v143, v136
	v_mov_b32_e32 v13, v9
	s_mov_b32 s13, s19
	s_add_i32 s14, s6, s16
	v_add_nc_u32_e32 v7, 8, v5
	v_add_nc_u32_e32 v2, s7, v1
	v_mad_u32_u24 v170, 0x1010, v138, v129
	v_mov_b32_e32 v24, v9
	s_ashr_i32 s6, s23, 31
	v_dual_mov_b32 v30, v9 :: v_dual_add_nc_u32 v143, 64, v143
	v_dual_mov_b32 v15, v9 :: v_dual_add_nc_u32 v4, s7, v2
	s_lshr_b32 s6, s6, 30
	v_mov_b32_e32 v32, v9
	s_add_i32 s23, s23, s6
	s_delay_alu instid0(VALU_DEP_2)
	v_add_nc_u32_e32 v6, s7, v4
	s_clause 0x3
	buffer_load_b128 v[144:147], v1, s[8:11], 0 offen
	buffer_load_b128 v[148:151], v2, s[8:11], 0 offen
	;; [unrolled: 1-line block ×4, first 2 shown]
	s_clause 0x2
	buffer_load_b128 v[160:163], v3, s[12:15], 0 offen
	buffer_load_b64 v[164:165], v5, s[12:15], 0 offen
	buffer_load_b64 v[166:167], v7, s[12:15], 0 offen
	v_mov_b32_e32 v6, v9
	v_dual_mov_b32 v20, v9 :: v_dual_and_b32 v141, 8, v133
	v_mov_b32_e32 v3, v9
	s_ashr_i32 s6, s23, 2
	v_mov_b32_e32 v2, v9
	v_mov_b32_e32 v4, v9
	v_or3_b32 v131, v141, v139, v142
	v_mov_b32_e32 v1, v9
	v_add_nc_u32_e32 v141, v168, v129
	v_add_nc_u32_e32 v168, 2, v130
	v_and_or_b32 v139, 0x300, v133, v169
	v_lshlrev_b32_e32 v138, 4, v131
	v_add_nc_u32_e32 v131, 3, v130
	v_dual_mov_b32 v5, v9 :: v_dual_add_nc_u32 v142, s20, v137
	v_mov_b32_e32 v7, v9
	v_dual_mov_b32 v26, v9 :: v_dual_add_nc_u32 v139, 0x4030, v139
	s_delay_alu instid0(VALU_DEP_4)
	v_mad_u64_u32 v[129:130], null, s7, v131, 64
	v_mad_u64_u32 v[130:131], null, s7, v168, 64
	v_mov_b32_e32 v97, v9
	v_mov_b32_e32 v98, v9
	;; [unrolled: 1-line block ×23, first 2 shown]
	v_dual_mov_b32 v128, v9 :: v_dual_add_nc_u32 v131, s7, v143
	s_add_i32 s6, s6, -1
	s_waitcnt vmcnt(6)
	ds_store_b128 v170, v[144:147]
	s_waitcnt vmcnt(5)
	ds_store_b128 v170, v[148:151] offset:16
	s_waitcnt vmcnt(4)
	ds_store_b128 v170, v[152:155] offset:32
	;; [unrolled: 2-line block ×5, first 2 shown]
	s_max_i32 s6, s6, 1
.LBB3_1:                                ; =>This Inner Loop Header: Depth=1
	v_add_nc_u32_e32 v144, v136, v143
	v_add_nc_u32_e32 v160, v136, v137
	;; [unrolled: 1-line block ×6, first 2 shown]
	s_clause 0x3
	buffer_load_b128 v[144:147], v144, s[8:11], 0 offen
	buffer_load_b128 v[148:151], v148, s[8:11], 0 offen
	buffer_load_b128 v[152:155], v152, s[8:11], 0 offen
	buffer_load_b128 v[156:159], v156, s[8:11], 0 offen
	s_waitcnt vmcnt(0) lgkmcnt(0)
	s_barrier
	s_clause 0x1
	buffer_load_b128 v[160:163], v160, s[12:15], 0 offen offset:64
	buffer_load_b128 v[164:167], v164, s[12:15], 0 offen offset:64
	ds_load_b128 v[168:171], v138
	ds_load_b128 v[172:175], v139
	ds_load_b128 v[176:179], v139 offset:1024
	ds_load_b128 v[180:183], v138 offset:512
	ds_load_b128 v[184:187], v138 offset:1024
	v_add_nc_u32_e32 v142, 64, v142
	v_add_nc_u32_e32 v137, 64, v137
	;; [unrolled: 1-line block ×6, first 2 shown]
	s_add_i32 s6, s6, -1
	s_delay_alu instid0(SALU_CYCLE_1)
	s_cmp_lg_u32 s6, 0
	s_waitcnt lgkmcnt(3)
	v_wmma_i32_16x16x16_iu8 v[121:128], v[168:171], v[172:175], v[121:128] neg_lo:[1,1,0]
	s_waitcnt lgkmcnt(2)
	v_wmma_i32_16x16x16_iu8 v[113:120], v[168:171], v[176:179], v[113:120] neg_lo:[1,1,0]
	ds_load_b128 v[168:171], v138 offset:1536
	s_waitcnt lgkmcnt(2)
	v_wmma_i32_16x16x16_iu8 v[97:104], v[180:183], v[172:175], v[97:104] neg_lo:[1,1,0]
	v_wmma_i32_16x16x16_iu8 v[105:112], v[180:183], v[176:179], v[105:112] neg_lo:[1,1,0]
	ds_load_b128 v[180:183], v138 offset:2048
	s_waitcnt lgkmcnt(2)
	v_wmma_i32_16x16x16_iu8 v[89:96], v[184:187], v[172:175], v[89:96] neg_lo:[1,1,0]
	v_wmma_i32_16x16x16_iu8 v[81:88], v[184:187], v[176:179], v[81:88] neg_lo:[1,1,0]
	ds_load_b128 v[184:187], v138 offset:2560
	s_waitcnt lgkmcnt(2)
	v_wmma_i32_16x16x16_iu8 v[65:72], v[168:171], v[172:175], v[65:72] neg_lo:[1,1,0]
	v_wmma_i32_16x16x16_iu8 v[73:80], v[168:171], v[176:179], v[73:80] neg_lo:[1,1,0]
	ds_load_b128 v[168:171], v138 offset:3072
	s_waitcnt lgkmcnt(2)
	v_wmma_i32_16x16x16_iu8 v[57:64], v[180:183], v[172:175], v[57:64] neg_lo:[1,1,0]
	v_wmma_i32_16x16x16_iu8 v[49:56], v[180:183], v[176:179], v[49:56] neg_lo:[1,1,0]
	ds_load_b128 v[180:183], v138 offset:3584
	s_waitcnt lgkmcnt(2)
	v_wmma_i32_16x16x16_iu8 v[33:40], v[184:187], v[172:175], v[33:40] neg_lo:[1,1,0]
	v_wmma_i32_16x16x16_iu8 v[41:48], v[184:187], v[176:179], v[41:48] neg_lo:[1,1,0]
	ds_load_b128 v[184:187], v138 offset:4112
	s_waitcnt lgkmcnt(2)
	v_wmma_i32_16x16x16_iu8 v[25:32], v[168:171], v[172:175], v[25:32] neg_lo:[1,1,0]
	v_wmma_i32_16x16x16_iu8 v[17:24], v[168:171], v[176:179], v[17:24] neg_lo:[1,1,0]
	ds_load_b128 v[168:171], v139 offset:2064
	s_waitcnt lgkmcnt(2)
	v_wmma_i32_16x16x16_iu8 v[1:8], v[180:183], v[172:175], v[1:8] neg_lo:[1,1,0]
	ds_load_b128 v[172:175], v139 offset:3088
	v_wmma_i32_16x16x16_iu8 v[9:16], v[180:183], v[176:179], v[9:16] neg_lo:[1,1,0]
	ds_load_b128 v[176:179], v138 offset:4624
	ds_load_b128 v[180:183], v138 offset:5136
	s_waitcnt lgkmcnt(3)
	v_wmma_i32_16x16x16_iu8 v[121:128], v[184:187], v[168:171], v[121:128] neg_lo:[1,1,0]
	s_waitcnt lgkmcnt(2)
	v_wmma_i32_16x16x16_iu8 v[113:120], v[184:187], v[172:175], v[113:120] neg_lo:[1,1,0]
	ds_load_b128 v[184:187], v138 offset:5648
	s_waitcnt lgkmcnt(2)
	v_wmma_i32_16x16x16_iu8 v[97:104], v[176:179], v[168:171], v[97:104] neg_lo:[1,1,0]
	v_wmma_i32_16x16x16_iu8 v[105:112], v[176:179], v[172:175], v[105:112] neg_lo:[1,1,0]
	ds_load_b128 v[176:179], v138 offset:6160
	s_waitcnt lgkmcnt(2)
	v_wmma_i32_16x16x16_iu8 v[89:96], v[180:183], v[168:171], v[89:96] neg_lo:[1,1,0]
	v_wmma_i32_16x16x16_iu8 v[81:88], v[180:183], v[172:175], v[81:88] neg_lo:[1,1,0]
	ds_load_b128 v[180:183], v138 offset:6672
	s_waitcnt lgkmcnt(2)
	v_wmma_i32_16x16x16_iu8 v[65:72], v[184:187], v[168:171], v[65:72] neg_lo:[1,1,0]
	v_wmma_i32_16x16x16_iu8 v[73:80], v[184:187], v[172:175], v[73:80] neg_lo:[1,1,0]
	ds_load_b128 v[184:187], v138 offset:7184
	s_waitcnt lgkmcnt(2)
	v_wmma_i32_16x16x16_iu8 v[57:64], v[176:179], v[168:171], v[57:64] neg_lo:[1,1,0]
	v_wmma_i32_16x16x16_iu8 v[49:56], v[176:179], v[172:175], v[49:56] neg_lo:[1,1,0]
	ds_load_b128 v[176:179], v138 offset:7696
	s_waitcnt lgkmcnt(2)
	v_wmma_i32_16x16x16_iu8 v[33:40], v[180:183], v[168:171], v[33:40] neg_lo:[1,1,0]
	v_wmma_i32_16x16x16_iu8 v[41:48], v[180:183], v[172:175], v[41:48] neg_lo:[1,1,0]
	ds_load_b128 v[180:183], v138 offset:8224
	s_waitcnt lgkmcnt(2)
	v_wmma_i32_16x16x16_iu8 v[25:32], v[184:187], v[168:171], v[25:32] neg_lo:[1,1,0]
	v_wmma_i32_16x16x16_iu8 v[17:24], v[184:187], v[172:175], v[17:24] neg_lo:[1,1,0]
	ds_load_b128 v[184:187], v139 offset:4128
	s_waitcnt lgkmcnt(2)
	v_wmma_i32_16x16x16_iu8 v[1:8], v[176:179], v[168:171], v[1:8] neg_lo:[1,1,0]
	ds_load_b128 v[168:171], v139 offset:5152
	v_wmma_i32_16x16x16_iu8 v[9:16], v[176:179], v[172:175], v[9:16] neg_lo:[1,1,0]
	ds_load_b128 v[172:175], v138 offset:8736
	ds_load_b128 v[176:179], v138 offset:9248
	;; [unrolled: 35-line block ×3, first 2 shown]
	s_waitcnt lgkmcnt(3)
	v_wmma_i32_16x16x16_iu8 v[121:128], v[176:179], v[180:183], v[121:128] neg_lo:[1,1,0]
	s_waitcnt lgkmcnt(2)
	v_wmma_i32_16x16x16_iu8 v[113:120], v[176:179], v[184:187], v[113:120] neg_lo:[1,1,0]
	ds_load_b128 v[176:179], v138 offset:13872
	s_waitcnt lgkmcnt(2)
	v_wmma_i32_16x16x16_iu8 v[97:104], v[168:171], v[180:183], v[97:104] neg_lo:[1,1,0]
	v_wmma_i32_16x16x16_iu8 v[105:112], v[168:171], v[184:187], v[105:112] neg_lo:[1,1,0]
	ds_load_b128 v[168:171], v138 offset:14384
	s_waitcnt lgkmcnt(2)
	v_wmma_i32_16x16x16_iu8 v[89:96], v[172:175], v[180:183], v[89:96] neg_lo:[1,1,0]
	;; [unrolled: 4-line block ×5, first 2 shown]
	v_wmma_i32_16x16x16_iu8 v[41:48], v[172:175], v[184:187], v[41:48] neg_lo:[1,1,0]
	s_waitcnt vmcnt(0) lgkmcnt(0)
	s_barrier
	ds_store_b128 v141, v[144:147]
	ds_store_b128 v141, v[148:151] offset:16
	ds_store_b128 v141, v[152:155] offset:32
	;; [unrolled: 1-line block ×5, first 2 shown]
	v_wmma_i32_16x16x16_iu8 v[25:32], v[176:179], v[180:183], v[25:32] neg_lo:[1,1,0]
	v_wmma_i32_16x16x16_iu8 v[17:24], v[176:179], v[184:187], v[17:24] neg_lo:[1,1,0]
	v_wmma_i32_16x16x16_iu8 v[1:8], v[168:171], v[180:183], v[1:8] neg_lo:[1,1,0]
	v_wmma_i32_16x16x16_iu8 v[9:16], v[168:171], v[184:187], v[9:16] neg_lo:[1,1,0]
	s_cbranch_scc1 .LBB3_1
; %bb.2:
	s_waitcnt lgkmcnt(0)
	s_barrier
	ds_load_b128 v[140:143], v138
	ds_load_b128 v[144:147], v139
	ds_load_b128 v[148:151], v139 offset:1024
	ds_load_b128 v[152:155], v138 offset:512
	v_lshlrev_b32_e32 v0, 5, v0
	v_and_b32_e32 v129, 0x400, v133
	s_mul_i32 s3, s3, s21
	s_mul_hi_u32 s2, s2, s21
	s_delay_alu instid0(VALU_DEP_2) | instskip(SKIP_3) | instid1(VALU_DEP_1)
	v_and_b32_e32 v0, 0x200, v0
	s_add_i32 s2, s2, s3
	s_mov_b32 s3, 0x31004000
	s_add_i32 s2, s5, s2
	v_and_or_b32 v0, v132, 48, v0
	s_delay_alu instid0(VALU_DEP_1)
	v_or3_b32 v129, v0, v129, v135
	v_and_b32_e32 v0, 56, v133
	s_waitcnt lgkmcnt(2)
	v_wmma_i32_16x16x16_iu8 v[121:128], v[140:143], v[144:147], v[121:128] neg_lo:[1,1,0]
	s_waitcnt lgkmcnt(1)
	v_wmma_i32_16x16x16_iu8 v[113:120], v[140:143], v[148:151], v[113:120] neg_lo:[1,1,0]
	s_waitcnt lgkmcnt(0)
	v_wmma_i32_16x16x16_iu8 v[97:104], v[152:155], v[144:147], v[97:104] neg_lo:[1,1,0]
	v_wmma_i32_16x16x16_iu8 v[105:112], v[152:155], v[148:151], v[105:112] neg_lo:[1,1,0]
	ds_load_b128 v[140:143], v138 offset:1024
	ds_load_b128 v[152:155], v138 offset:1536
	s_waitcnt lgkmcnt(1)
	v_wmma_i32_16x16x16_iu8 v[89:96], v[140:143], v[144:147], v[89:96] neg_lo:[1,1,0]
	v_wmma_i32_16x16x16_iu8 v[81:88], v[140:143], v[148:151], v[81:88] neg_lo:[1,1,0]
	s_waitcnt lgkmcnt(0)
	v_wmma_i32_16x16x16_iu8 v[65:72], v[152:155], v[144:147], v[65:72] neg_lo:[1,1,0]
	v_wmma_i32_16x16x16_iu8 v[73:80], v[152:155], v[148:151], v[73:80] neg_lo:[1,1,0]
	ds_load_b128 v[140:143], v138 offset:2048
	ds_load_b128 v[152:155], v138 offset:2560
	s_waitcnt lgkmcnt(1)
	v_wmma_i32_16x16x16_iu8 v[57:64], v[140:143], v[144:147], v[57:64] neg_lo:[1,1,0]
	v_wmma_i32_16x16x16_iu8 v[49:56], v[140:143], v[148:151], v[49:56] neg_lo:[1,1,0]
	s_waitcnt lgkmcnt(0)
	v_wmma_i32_16x16x16_iu8 v[33:40], v[152:155], v[144:147], v[33:40] neg_lo:[1,1,0]
	v_wmma_i32_16x16x16_iu8 v[41:48], v[152:155], v[148:151], v[41:48] neg_lo:[1,1,0]
	ds_load_b128 v[140:143], v138 offset:3072
	ds_load_b128 v[152:155], v138 offset:3584
	s_waitcnt lgkmcnt(1)
	v_wmma_i32_16x16x16_iu8 v[25:32], v[140:143], v[144:147], v[25:32] neg_lo:[1,1,0]
	v_wmma_i32_16x16x16_iu8 v[17:24], v[140:143], v[148:151], v[17:24] neg_lo:[1,1,0]
	s_waitcnt lgkmcnt(0)
	v_wmma_i32_16x16x16_iu8 v[1:8], v[152:155], v[144:147], v[1:8] neg_lo:[1,1,0]
	v_wmma_i32_16x16x16_iu8 v[9:16], v[152:155], v[148:151], v[9:16] neg_lo:[1,1,0]
	ds_load_b128 v[140:143], v138 offset:4112
	ds_load_b128 v[144:147], v139 offset:2064
	ds_load_b128 v[148:151], v139 offset:3088
	ds_load_b128 v[152:155], v138 offset:4624
	s_waitcnt lgkmcnt(2)
	v_wmma_i32_16x16x16_iu8 v[121:128], v[140:143], v[144:147], v[121:128] neg_lo:[1,1,0]
	s_waitcnt lgkmcnt(1)
	v_wmma_i32_16x16x16_iu8 v[113:120], v[140:143], v[148:151], v[113:120] neg_lo:[1,1,0]
	s_waitcnt lgkmcnt(0)
	v_wmma_i32_16x16x16_iu8 v[97:104], v[152:155], v[144:147], v[97:104] neg_lo:[1,1,0]
	v_wmma_i32_16x16x16_iu8 v[105:112], v[152:155], v[148:151], v[105:112] neg_lo:[1,1,0]
	ds_load_b128 v[140:143], v138 offset:5136
	ds_load_b128 v[152:155], v138 offset:5648
	s_waitcnt lgkmcnt(1)
	v_wmma_i32_16x16x16_iu8 v[89:96], v[140:143], v[144:147], v[89:96] neg_lo:[1,1,0]
	v_wmma_i32_16x16x16_iu8 v[81:88], v[140:143], v[148:151], v[81:88] neg_lo:[1,1,0]
	s_waitcnt lgkmcnt(0)
	v_wmma_i32_16x16x16_iu8 v[65:72], v[152:155], v[144:147], v[65:72] neg_lo:[1,1,0]
	v_wmma_i32_16x16x16_iu8 v[73:80], v[152:155], v[148:151], v[73:80] neg_lo:[1,1,0]
	ds_load_b128 v[140:143], v138 offset:6160
	ds_load_b128 v[152:155], v138 offset:6672
	s_waitcnt lgkmcnt(1)
	v_wmma_i32_16x16x16_iu8 v[57:64], v[140:143], v[144:147], v[57:64] neg_lo:[1,1,0]
	v_wmma_i32_16x16x16_iu8 v[49:56], v[140:143], v[148:151], v[49:56] neg_lo:[1,1,0]
	s_waitcnt lgkmcnt(0)
	v_wmma_i32_16x16x16_iu8 v[33:40], v[152:155], v[144:147], v[33:40] neg_lo:[1,1,0]
	v_wmma_i32_16x16x16_iu8 v[41:48], v[152:155], v[148:151], v[41:48] neg_lo:[1,1,0]
	ds_load_b128 v[140:143], v138 offset:7184
	ds_load_b128 v[152:155], v138 offset:7696
	s_waitcnt lgkmcnt(1)
	v_wmma_i32_16x16x16_iu8 v[25:32], v[140:143], v[144:147], v[25:32] neg_lo:[1,1,0]
	v_wmma_i32_16x16x16_iu8 v[17:24], v[140:143], v[148:151], v[17:24] neg_lo:[1,1,0]
	s_waitcnt lgkmcnt(0)
	v_wmma_i32_16x16x16_iu8 v[1:8], v[152:155], v[144:147], v[1:8] neg_lo:[1,1,0]
	v_wmma_i32_16x16x16_iu8 v[9:16], v[152:155], v[148:151], v[9:16] neg_lo:[1,1,0]
	ds_load_b128 v[140:143], v138 offset:8224
	ds_load_b128 v[144:147], v139 offset:4128
	ds_load_b128 v[148:151], v139 offset:5152
	ds_load_b128 v[152:155], v138 offset:8736
	;; [unrolled: 35-line block ×3, first 2 shown]
	s_waitcnt lgkmcnt(1)
	v_wmma_i32_16x16x16_iu8 v[121:128], v[148:151], v[140:143], v[121:128] neg_lo:[1,1,0]
	v_wmma_i32_16x16x16_iu8 v[113:120], v[148:151], v[144:147], v[113:120] neg_lo:[1,1,0]
	s_waitcnt lgkmcnt(0)
	v_wmma_i32_16x16x16_iu8 v[97:104], v[152:155], v[140:143], v[97:104] neg_lo:[1,1,0]
	v_wmma_i32_16x16x16_iu8 v[105:112], v[152:155], v[144:147], v[105:112] neg_lo:[1,1,0]
	ds_load_b128 v[148:151], v138 offset:13360
	ds_load_b128 v[152:155], v138 offset:13872
	s_waitcnt lgkmcnt(1)
	v_wmma_i32_16x16x16_iu8 v[89:96], v[148:151], v[140:143], v[89:96] neg_lo:[1,1,0]
	v_wmma_i32_16x16x16_iu8 v[81:88], v[148:151], v[144:147], v[81:88] neg_lo:[1,1,0]
	s_waitcnt lgkmcnt(0)
	v_wmma_i32_16x16x16_iu8 v[65:72], v[152:155], v[140:143], v[65:72] neg_lo:[1,1,0]
	v_wmma_i32_16x16x16_iu8 v[73:80], v[152:155], v[144:147], v[73:80] neg_lo:[1,1,0]
	ds_load_b128 v[148:151], v138 offset:14384
	ds_load_b128 v[152:155], v138 offset:14896
	s_waitcnt lgkmcnt(1)
	v_wmma_i32_16x16x16_iu8 v[57:64], v[148:151], v[140:143], v[57:64] neg_lo:[1,1,0]
	v_wmma_i32_16x16x16_iu8 v[49:56], v[148:151], v[144:147], v[49:56] neg_lo:[1,1,0]
	ds_load_b128 v[148:151], v138 offset:15408
	ds_load_b128 v[136:139], v138 offset:15920
	s_waitcnt lgkmcnt(0)
	s_barrier
	ds_store_b8 v129, v121
	ds_store_b8 v129, v122 offset:64
	ds_store_b8 v129, v123 offset:128
	;; [unrolled: 1-line block ×7, first 2 shown]
	v_lshl_or_b32 v124, v134, 6, v0
	v_lshl_or_b32 v123, s4, 8, v134
	v_or_b32_e32 v0, s22, v0
	s_waitcnt lgkmcnt(0)
	s_barrier
	s_lshl_b32 s4, s21, 5
	v_wmma_i32_16x16x16_iu8 v[41:48], v[152:155], v[144:147], v[41:48] neg_lo:[1,1,0]
	v_wmma_i32_16x16x16_iu8 v[33:40], v[152:155], v[140:143], v[33:40] neg_lo:[1,1,0]
	;; [unrolled: 1-line block ×6, first 2 shown]
	s_delay_alu instid0(VALU_DEP_3)
	v_mad_u64_u32 v[121:122], null, v123, s21, v[0:1]
	ds_load_2addr_b32 v[122:123], v124 offset1:1
	v_add_nc_u32_e32 v0, s4, v121
	s_waitcnt lgkmcnt(0)
	buffer_store_b64 v[122:123], v121, s[0:3], 0 offen
	s_waitcnt lgkmcnt(0)
	s_waitcnt_vscnt null, 0x0
	s_barrier
	ds_store_b8 v129, v113
	ds_store_b8 v129, v114 offset:64
	ds_store_b8 v129, v115 offset:128
	;; [unrolled: 1-line block ×7, first 2 shown]
	s_waitcnt lgkmcnt(0)
	s_barrier
	ds_load_2addr_b32 v[113:114], v124 offset1:1
	s_waitcnt lgkmcnt(0)
	buffer_store_b64 v[113:114], v121, s[0:3], 0 offen offset:64
	s_waitcnt lgkmcnt(0)
	s_waitcnt_vscnt null, 0x0
	s_barrier
	ds_store_b8 v129, v105
	ds_store_b8 v129, v106 offset:64
	ds_store_b8 v129, v107 offset:128
	;; [unrolled: 1-line block ×7, first 2 shown]
	s_waitcnt lgkmcnt(0)
	s_barrier
	ds_load_2addr_b32 v[105:106], v124 offset1:1
	v_add_nc_u32_e32 v107, 64, v0
	s_waitcnt lgkmcnt(0)
	buffer_store_b64 v[105:106], v107, s[0:3], 0 offen
	s_waitcnt lgkmcnt(0)
	s_waitcnt_vscnt null, 0x0
	s_barrier
	ds_store_b8 v129, v97
	ds_store_b8 v129, v98 offset:64
	ds_store_b8 v129, v99 offset:128
	;; [unrolled: 1-line block ×7, first 2 shown]
	s_waitcnt lgkmcnt(0)
	s_barrier
	ds_load_2addr_b32 v[97:98], v124 offset1:1
	s_waitcnt lgkmcnt(0)
	buffer_store_b64 v[97:98], v0, s[0:3], 0 offen
	s_waitcnt lgkmcnt(0)
	s_waitcnt_vscnt null, 0x0
	s_barrier
	ds_store_b8 v129, v89
	ds_store_b8 v129, v90 offset:64
	ds_store_b8 v129, v91 offset:128
	ds_store_b8 v129, v92 offset:192
	ds_store_b8 v129, v93 offset:256
	ds_store_b8 v129, v94 offset:320
	ds_store_b8 v129, v95 offset:384
	ds_store_b8 v129, v96 offset:448
	s_waitcnt lgkmcnt(0)
	s_barrier
	ds_load_2addr_b32 v[89:90], v124 offset1:1
	v_add_nc_u32_e32 v0, s4, v0
	s_waitcnt lgkmcnt(0)
	buffer_store_b64 v[89:90], v0, s[0:3], 0 offen
	s_waitcnt lgkmcnt(0)
	s_waitcnt_vscnt null, 0x0
	s_barrier
	ds_store_b8 v129, v81
	ds_store_b8 v129, v82 offset:64
	ds_store_b8 v129, v83 offset:128
	;; [unrolled: 1-line block ×7, first 2 shown]
	s_waitcnt lgkmcnt(0)
	s_barrier
	ds_load_2addr_b32 v[81:82], v124 offset1:1
	s_waitcnt lgkmcnt(0)
	buffer_store_b64 v[81:82], v0, s[0:3], 0 offen offset:64
	s_waitcnt lgkmcnt(0)
	s_waitcnt_vscnt null, 0x0
	s_barrier
	ds_store_b8 v129, v73
	ds_store_b8 v129, v74 offset:64
	ds_store_b8 v129, v75 offset:128
	ds_store_b8 v129, v76 offset:192
	ds_store_b8 v129, v77 offset:256
	ds_store_b8 v129, v78 offset:320
	ds_store_b8 v129, v79 offset:384
	ds_store_b8 v129, v80 offset:448
	s_waitcnt lgkmcnt(0)
	s_barrier
	ds_load_2addr_b32 v[73:74], v124 offset1:1
	v_add_nc_u32_e32 v0, s4, v0
	s_delay_alu instid0(VALU_DEP_1)
	v_add_nc_u32_e32 v75, 64, v0
	s_waitcnt lgkmcnt(0)
	buffer_store_b64 v[73:74], v75, s[0:3], 0 offen
	s_waitcnt lgkmcnt(0)
	s_waitcnt_vscnt null, 0x0
	s_barrier
	ds_store_b8 v129, v65
	ds_store_b8 v129, v66 offset:64
	ds_store_b8 v129, v67 offset:128
	ds_store_b8 v129, v68 offset:192
	ds_store_b8 v129, v69 offset:256
	ds_store_b8 v129, v70 offset:320
	ds_store_b8 v129, v71 offset:384
	ds_store_b8 v129, v72 offset:448
	s_waitcnt lgkmcnt(0)
	s_barrier
	ds_load_2addr_b32 v[65:66], v124 offset1:1
	s_waitcnt lgkmcnt(0)
	buffer_store_b64 v[65:66], v0, s[0:3], 0 offen
	s_waitcnt lgkmcnt(0)
	s_waitcnt_vscnt null, 0x0
	s_barrier
	ds_store_b8 v129, v57
	ds_store_b8 v129, v58 offset:64
	ds_store_b8 v129, v59 offset:128
	;; [unrolled: 1-line block ×7, first 2 shown]
	s_waitcnt lgkmcnt(0)
	s_barrier
	ds_load_2addr_b32 v[57:58], v124 offset1:1
	v_add_nc_u32_e32 v0, s4, v0
	s_waitcnt lgkmcnt(0)
	buffer_store_b64 v[57:58], v0, s[0:3], 0 offen
	s_waitcnt lgkmcnt(0)
	s_waitcnt_vscnt null, 0x0
	s_barrier
	ds_store_b8 v129, v49
	ds_store_b8 v129, v50 offset:64
	ds_store_b8 v129, v51 offset:128
	;; [unrolled: 1-line block ×7, first 2 shown]
	s_waitcnt lgkmcnt(0)
	s_barrier
	ds_load_2addr_b32 v[49:50], v124 offset1:1
	s_waitcnt lgkmcnt(0)
	buffer_store_b64 v[49:50], v0, s[0:3], 0 offen offset:64
	s_waitcnt lgkmcnt(0)
	s_waitcnt_vscnt null, 0x0
	s_barrier
	ds_store_b8 v129, v41
	ds_store_b8 v129, v42 offset:64
	ds_store_b8 v129, v43 offset:128
	;; [unrolled: 1-line block ×7, first 2 shown]
	s_waitcnt lgkmcnt(0)
	s_barrier
	ds_load_2addr_b32 v[41:42], v124 offset1:1
	v_add_nc_u32_e32 v0, s4, v0
	s_delay_alu instid0(VALU_DEP_1)
	v_add_nc_u32_e32 v43, 64, v0
	s_waitcnt lgkmcnt(0)
	buffer_store_b64 v[41:42], v43, s[0:3], 0 offen
	s_waitcnt lgkmcnt(0)
	s_waitcnt_vscnt null, 0x0
	s_barrier
	ds_store_b8 v129, v33
	ds_store_b8 v129, v34 offset:64
	ds_store_b8 v129, v35 offset:128
	;; [unrolled: 1-line block ×7, first 2 shown]
	s_waitcnt lgkmcnt(0)
	s_barrier
	ds_load_2addr_b32 v[33:34], v124 offset1:1
	s_waitcnt lgkmcnt(0)
	buffer_store_b64 v[33:34], v0, s[0:3], 0 offen
	s_waitcnt lgkmcnt(0)
	s_waitcnt_vscnt null, 0x0
	s_barrier
	ds_store_b8 v129, v25
	ds_store_b8 v129, v26 offset:64
	ds_store_b8 v129, v27 offset:128
	;; [unrolled: 1-line block ×7, first 2 shown]
	s_waitcnt lgkmcnt(0)
	s_barrier
	ds_load_2addr_b32 v[25:26], v124 offset1:1
	v_add_nc_u32_e32 v0, s4, v0
	s_waitcnt lgkmcnt(0)
	buffer_store_b64 v[25:26], v0, s[0:3], 0 offen
	s_waitcnt lgkmcnt(0)
	s_waitcnt_vscnt null, 0x0
	s_barrier
	ds_store_b8 v129, v17
	ds_store_b8 v129, v18 offset:64
	ds_store_b8 v129, v19 offset:128
	;; [unrolled: 1-line block ×7, first 2 shown]
	s_waitcnt lgkmcnt(0)
	s_barrier
	ds_load_2addr_b32 v[17:18], v124 offset1:1
	s_waitcnt lgkmcnt(0)
	buffer_store_b64 v[17:18], v0, s[0:3], 0 offen offset:64
	s_waitcnt lgkmcnt(0)
	s_waitcnt_vscnt null, 0x0
	s_barrier
	ds_store_b8 v129, v9
	ds_store_b8 v129, v10 offset:64
	ds_store_b8 v129, v11 offset:128
	;; [unrolled: 1-line block ×7, first 2 shown]
	s_waitcnt lgkmcnt(0)
	s_barrier
	ds_load_2addr_b32 v[9:10], v124 offset1:1
	v_add_nc_u32_e32 v11, s4, v0
	s_delay_alu instid0(VALU_DEP_1)
	v_add_nc_u32_e32 v0, 64, v11
	s_waitcnt lgkmcnt(0)
	buffer_store_b64 v[9:10], v0, s[0:3], 0 offen
	s_waitcnt lgkmcnt(0)
	s_waitcnt_vscnt null, 0x0
	s_barrier
	ds_store_b8 v129, v1
	ds_store_b8 v129, v2 offset:64
	ds_store_b8 v129, v3 offset:128
	;; [unrolled: 1-line block ×7, first 2 shown]
	s_waitcnt lgkmcnt(0)
	s_barrier
	ds_load_2addr_b32 v[0:1], v124 offset1:1
	s_waitcnt lgkmcnt(0)
	buffer_store_b64 v[0:1], v11, s[0:3], 0 offen
	s_nop 0
	s_sendmsg sendmsg(MSG_DEALLOC_VGPRS)
	s_endpgm
	.section	.rodata,"a",@progbits
	.p2align	6, 0x0
	.amdhsa_kernel _ZN2ck27kernel_gemm_xdl_cshuffle_v1INS_43GridwiseGemm_k0mk1_k0nk1_mn_xdl_cshuffle_v1INS_13tensor_layout4gemm8RowMajorENS3_11ColumnMajorES4_aaiaaNS_16tensor_operation12element_wise11PassThroughES8_S8_LNS6_6device18GemmSpecializationE0ELNS_25InMemoryDataOperationEnumE0ELi1ELi256ELi256ELi128ELi64ELi16ELi16ELi16ELi16ELi8ELi2ENS_8SequenceIJLi4ELi64ELi1EEEENSC_IJLi1ELi0ELi2EEEESE_Li2ELi16ELi16ELb0ELi1ESD_SE_SE_Li2ELi8ELi8ELb0ELi1ELi1ELi1ENSC_IJLi1ELi32ELi1ELi8EEEELi4ELNS_13LoopSchedulerE0ELNS_15PipelineVersionE0EaaEELb1EEEvNT_8ArgumentE
		.amdhsa_group_segment_fixed_size 24672
		.amdhsa_private_segment_fixed_size 0
		.amdhsa_kernarg_size 96
		.amdhsa_user_sgpr_count 15
		.amdhsa_user_sgpr_dispatch_ptr 0
		.amdhsa_user_sgpr_queue_ptr 0
		.amdhsa_user_sgpr_kernarg_segment_ptr 1
		.amdhsa_user_sgpr_dispatch_id 0
		.amdhsa_user_sgpr_private_segment_size 0
		.amdhsa_wavefront_size32 1
		.amdhsa_uses_dynamic_stack 0
		.amdhsa_enable_private_segment 0
		.amdhsa_system_sgpr_workgroup_id_x 1
		.amdhsa_system_sgpr_workgroup_id_y 0
		.amdhsa_system_sgpr_workgroup_id_z 0
		.amdhsa_system_sgpr_workgroup_info 0
		.amdhsa_system_vgpr_workitem_id 0
		.amdhsa_next_free_vgpr 188
		.amdhsa_next_free_sgpr 24
		.amdhsa_reserve_vcc 0
		.amdhsa_float_round_mode_32 0
		.amdhsa_float_round_mode_16_64 0
		.amdhsa_float_denorm_mode_32 3
		.amdhsa_float_denorm_mode_16_64 3
		.amdhsa_dx10_clamp 1
		.amdhsa_ieee_mode 1
		.amdhsa_fp16_overflow 0
		.amdhsa_workgroup_processor_mode 1
		.amdhsa_memory_ordered 1
		.amdhsa_forward_progress 0
		.amdhsa_shared_vgpr_count 0
		.amdhsa_exception_fp_ieee_invalid_op 0
		.amdhsa_exception_fp_denorm_src 0
		.amdhsa_exception_fp_ieee_div_zero 0
		.amdhsa_exception_fp_ieee_overflow 0
		.amdhsa_exception_fp_ieee_underflow 0
		.amdhsa_exception_fp_ieee_inexact 0
		.amdhsa_exception_int_div_zero 0
	.end_amdhsa_kernel
	.section	.text._ZN2ck27kernel_gemm_xdl_cshuffle_v1INS_43GridwiseGemm_k0mk1_k0nk1_mn_xdl_cshuffle_v1INS_13tensor_layout4gemm8RowMajorENS3_11ColumnMajorES4_aaiaaNS_16tensor_operation12element_wise11PassThroughES8_S8_LNS6_6device18GemmSpecializationE0ELNS_25InMemoryDataOperationEnumE0ELi1ELi256ELi256ELi128ELi64ELi16ELi16ELi16ELi16ELi8ELi2ENS_8SequenceIJLi4ELi64ELi1EEEENSC_IJLi1ELi0ELi2EEEESE_Li2ELi16ELi16ELb0ELi1ESD_SE_SE_Li2ELi8ELi8ELb0ELi1ELi1ELi1ENSC_IJLi1ELi32ELi1ELi8EEEELi4ELNS_13LoopSchedulerE0ELNS_15PipelineVersionE0EaaEELb1EEEvNT_8ArgumentE,"axG",@progbits,_ZN2ck27kernel_gemm_xdl_cshuffle_v1INS_43GridwiseGemm_k0mk1_k0nk1_mn_xdl_cshuffle_v1INS_13tensor_layout4gemm8RowMajorENS3_11ColumnMajorES4_aaiaaNS_16tensor_operation12element_wise11PassThroughES8_S8_LNS6_6device18GemmSpecializationE0ELNS_25InMemoryDataOperationEnumE0ELi1ELi256ELi256ELi128ELi64ELi16ELi16ELi16ELi16ELi8ELi2ENS_8SequenceIJLi4ELi64ELi1EEEENSC_IJLi1ELi0ELi2EEEESE_Li2ELi16ELi16ELb0ELi1ESD_SE_SE_Li2ELi8ELi8ELb0ELi1ELi1ELi1ENSC_IJLi1ELi32ELi1ELi8EEEELi4ELNS_13LoopSchedulerE0ELNS_15PipelineVersionE0EaaEELb1EEEvNT_8ArgumentE,comdat
.Lfunc_end3:
	.size	_ZN2ck27kernel_gemm_xdl_cshuffle_v1INS_43GridwiseGemm_k0mk1_k0nk1_mn_xdl_cshuffle_v1INS_13tensor_layout4gemm8RowMajorENS3_11ColumnMajorES4_aaiaaNS_16tensor_operation12element_wise11PassThroughES8_S8_LNS6_6device18GemmSpecializationE0ELNS_25InMemoryDataOperationEnumE0ELi1ELi256ELi256ELi128ELi64ELi16ELi16ELi16ELi16ELi8ELi2ENS_8SequenceIJLi4ELi64ELi1EEEENSC_IJLi1ELi0ELi2EEEESE_Li2ELi16ELi16ELb0ELi1ESD_SE_SE_Li2ELi8ELi8ELb0ELi1ELi1ELi1ENSC_IJLi1ELi32ELi1ELi8EEEELi4ELNS_13LoopSchedulerE0ELNS_15PipelineVersionE0EaaEELb1EEEvNT_8ArgumentE, .Lfunc_end3-_ZN2ck27kernel_gemm_xdl_cshuffle_v1INS_43GridwiseGemm_k0mk1_k0nk1_mn_xdl_cshuffle_v1INS_13tensor_layout4gemm8RowMajorENS3_11ColumnMajorES4_aaiaaNS_16tensor_operation12element_wise11PassThroughES8_S8_LNS6_6device18GemmSpecializationE0ELNS_25InMemoryDataOperationEnumE0ELi1ELi256ELi256ELi128ELi64ELi16ELi16ELi16ELi16ELi8ELi2ENS_8SequenceIJLi4ELi64ELi1EEEENSC_IJLi1ELi0ELi2EEEESE_Li2ELi16ELi16ELb0ELi1ESD_SE_SE_Li2ELi8ELi8ELb0ELi1ELi1ELi1ENSC_IJLi1ELi32ELi1ELi8EEEELi4ELNS_13LoopSchedulerE0ELNS_15PipelineVersionE0EaaEELb1EEEvNT_8ArgumentE
                                        ; -- End function
	.section	.AMDGPU.csdata,"",@progbits
; Kernel info:
; codeLenInByte = 5436
; NumSgprs: 24
; NumVgprs: 188
; ScratchSize: 0
; MemoryBound: 0
; FloatMode: 240
; IeeeMode: 1
; LDSByteSize: 24672 bytes/workgroup (compile time only)
; SGPRBlocks: 2
; VGPRBlocks: 23
; NumSGPRsForWavesPerEU: 24
; NumVGPRsForWavesPerEU: 188
; Occupancy: 8
; WaveLimiterHint : 0
; COMPUTE_PGM_RSRC2:SCRATCH_EN: 0
; COMPUTE_PGM_RSRC2:USER_SGPR: 15
; COMPUTE_PGM_RSRC2:TRAP_HANDLER: 0
; COMPUTE_PGM_RSRC2:TGID_X_EN: 1
; COMPUTE_PGM_RSRC2:TGID_Y_EN: 0
; COMPUTE_PGM_RSRC2:TGID_Z_EN: 0
; COMPUTE_PGM_RSRC2:TIDIG_COMP_CNT: 0
	.section	.text._ZN2ck27kernel_gemm_xdl_cshuffle_v1INS_43GridwiseGemm_k0mk1_k0nk1_mn_xdl_cshuffle_v1INS_13tensor_layout4gemm8RowMajorENS3_11ColumnMajorES4_aaiaaNS_16tensor_operation12element_wise11PassThroughES8_S8_LNS6_6device18GemmSpecializationE0ELNS_25InMemoryDataOperationEnumE0ELi1ELi256ELi256ELi128ELi64ELi16ELi16ELi16ELi16ELi8ELi2ENS_8SequenceIJLi4ELi64ELi1EEEENSC_IJLi1ELi0ELi2EEEESE_Li2ELi16ELi16ELb0ELi1ESD_SE_SE_Li2ELi8ELi8ELb0ELi1ELi1ELi1ENSC_IJLi1ELi32ELi1ELi8EEEELi4ELNS_13LoopSchedulerE0ELNS_15PipelineVersionE0EaaEELb0EEEvNT_8ArgumentE,"axG",@progbits,_ZN2ck27kernel_gemm_xdl_cshuffle_v1INS_43GridwiseGemm_k0mk1_k0nk1_mn_xdl_cshuffle_v1INS_13tensor_layout4gemm8RowMajorENS3_11ColumnMajorES4_aaiaaNS_16tensor_operation12element_wise11PassThroughES8_S8_LNS6_6device18GemmSpecializationE0ELNS_25InMemoryDataOperationEnumE0ELi1ELi256ELi256ELi128ELi64ELi16ELi16ELi16ELi16ELi8ELi2ENS_8SequenceIJLi4ELi64ELi1EEEENSC_IJLi1ELi0ELi2EEEESE_Li2ELi16ELi16ELb0ELi1ESD_SE_SE_Li2ELi8ELi8ELb0ELi1ELi1ELi1ENSC_IJLi1ELi32ELi1ELi8EEEELi4ELNS_13LoopSchedulerE0ELNS_15PipelineVersionE0EaaEELb0EEEvNT_8ArgumentE,comdat
	.protected	_ZN2ck27kernel_gemm_xdl_cshuffle_v1INS_43GridwiseGemm_k0mk1_k0nk1_mn_xdl_cshuffle_v1INS_13tensor_layout4gemm8RowMajorENS3_11ColumnMajorES4_aaiaaNS_16tensor_operation12element_wise11PassThroughES8_S8_LNS6_6device18GemmSpecializationE0ELNS_25InMemoryDataOperationEnumE0ELi1ELi256ELi256ELi128ELi64ELi16ELi16ELi16ELi16ELi8ELi2ENS_8SequenceIJLi4ELi64ELi1EEEENSC_IJLi1ELi0ELi2EEEESE_Li2ELi16ELi16ELb0ELi1ESD_SE_SE_Li2ELi8ELi8ELb0ELi1ELi1ELi1ENSC_IJLi1ELi32ELi1ELi8EEEELi4ELNS_13LoopSchedulerE0ELNS_15PipelineVersionE0EaaEELb0EEEvNT_8ArgumentE ; -- Begin function _ZN2ck27kernel_gemm_xdl_cshuffle_v1INS_43GridwiseGemm_k0mk1_k0nk1_mn_xdl_cshuffle_v1INS_13tensor_layout4gemm8RowMajorENS3_11ColumnMajorES4_aaiaaNS_16tensor_operation12element_wise11PassThroughES8_S8_LNS6_6device18GemmSpecializationE0ELNS_25InMemoryDataOperationEnumE0ELi1ELi256ELi256ELi128ELi64ELi16ELi16ELi16ELi16ELi8ELi2ENS_8SequenceIJLi4ELi64ELi1EEEENSC_IJLi1ELi0ELi2EEEESE_Li2ELi16ELi16ELb0ELi1ESD_SE_SE_Li2ELi8ELi8ELb0ELi1ELi1ELi1ENSC_IJLi1ELi32ELi1ELi8EEEELi4ELNS_13LoopSchedulerE0ELNS_15PipelineVersionE0EaaEELb0EEEvNT_8ArgumentE
	.globl	_ZN2ck27kernel_gemm_xdl_cshuffle_v1INS_43GridwiseGemm_k0mk1_k0nk1_mn_xdl_cshuffle_v1INS_13tensor_layout4gemm8RowMajorENS3_11ColumnMajorES4_aaiaaNS_16tensor_operation12element_wise11PassThroughES8_S8_LNS6_6device18GemmSpecializationE0ELNS_25InMemoryDataOperationEnumE0ELi1ELi256ELi256ELi128ELi64ELi16ELi16ELi16ELi16ELi8ELi2ENS_8SequenceIJLi4ELi64ELi1EEEENSC_IJLi1ELi0ELi2EEEESE_Li2ELi16ELi16ELb0ELi1ESD_SE_SE_Li2ELi8ELi8ELb0ELi1ELi1ELi1ENSC_IJLi1ELi32ELi1ELi8EEEELi4ELNS_13LoopSchedulerE0ELNS_15PipelineVersionE0EaaEELb0EEEvNT_8ArgumentE
	.p2align	8
	.type	_ZN2ck27kernel_gemm_xdl_cshuffle_v1INS_43GridwiseGemm_k0mk1_k0nk1_mn_xdl_cshuffle_v1INS_13tensor_layout4gemm8RowMajorENS3_11ColumnMajorES4_aaiaaNS_16tensor_operation12element_wise11PassThroughES8_S8_LNS6_6device18GemmSpecializationE0ELNS_25InMemoryDataOperationEnumE0ELi1ELi256ELi256ELi128ELi64ELi16ELi16ELi16ELi16ELi8ELi2ENS_8SequenceIJLi4ELi64ELi1EEEENSC_IJLi1ELi0ELi2EEEESE_Li2ELi16ELi16ELb0ELi1ESD_SE_SE_Li2ELi8ELi8ELb0ELi1ELi1ELi1ENSC_IJLi1ELi32ELi1ELi8EEEELi4ELNS_13LoopSchedulerE0ELNS_15PipelineVersionE0EaaEELb0EEEvNT_8ArgumentE,@function
_ZN2ck27kernel_gemm_xdl_cshuffle_v1INS_43GridwiseGemm_k0mk1_k0nk1_mn_xdl_cshuffle_v1INS_13tensor_layout4gemm8RowMajorENS3_11ColumnMajorES4_aaiaaNS_16tensor_operation12element_wise11PassThroughES8_S8_LNS6_6device18GemmSpecializationE0ELNS_25InMemoryDataOperationEnumE0ELi1ELi256ELi256ELi128ELi64ELi16ELi16ELi16ELi16ELi8ELi2ENS_8SequenceIJLi4ELi64ELi1EEEENSC_IJLi1ELi0ELi2EEEESE_Li2ELi16ELi16ELb0ELi1ESD_SE_SE_Li2ELi8ELi8ELb0ELi1ELi1ELi1ENSC_IJLi1ELi32ELi1ELi8EEEELi4ELNS_13LoopSchedulerE0ELNS_15PipelineVersionE0EaaEELb0EEEvNT_8ArgumentE: ; @_ZN2ck27kernel_gemm_xdl_cshuffle_v1INS_43GridwiseGemm_k0mk1_k0nk1_mn_xdl_cshuffle_v1INS_13tensor_layout4gemm8RowMajorENS3_11ColumnMajorES4_aaiaaNS_16tensor_operation12element_wise11PassThroughES8_S8_LNS6_6device18GemmSpecializationE0ELNS_25InMemoryDataOperationEnumE0ELi1ELi256ELi256ELi128ELi64ELi16ELi16ELi16ELi16ELi8ELi2ENS_8SequenceIJLi4ELi64ELi1EEEENSC_IJLi1ELi0ELi2EEEESE_Li2ELi16ELi16ELb0ELi1ESD_SE_SE_Li2ELi8ELi8ELb0ELi1ELi1ELi1ENSC_IJLi1ELi32ELi1ELi8EEEELi4ELNS_13LoopSchedulerE0ELNS_15PipelineVersionE0EaaEELb0EEEvNT_8ArgumentE
; %bb.0:
	s_clause 0x1
	s_load_b128 s[4:7], s[0:1], 0x10
	s_load_b64 s[16:17], s[0:1], 0x20
	s_add_u32 s2, 0, 0
	s_mov_b32 s20, 0
	v_lshrrev_b32_e32 v35, 1, v0
	s_mov_b32 s21, s20
	s_mov_b32 s22, s20
	;; [unrolled: 1-line block ×7, first 2 shown]
	v_and_b32_e32 v33, 0xfc, v0
	v_and_b32_e32 v36, 0x7e, v35
	v_lshlrev_b32_e32 v37, 3, v0
	v_lshrrev_b32_e32 v179, 3, v0
	v_bfe_u32 v38, v0, 1, 3
	v_lshlrev_b32_e32 v39, 5, v0
	v_and_b32_e32 v34, 3, v0
	v_and_b32_e32 v40, 8, v37
	s_waitcnt lgkmcnt(0)
	s_addc_u32 s2, s4, -1
	s_add_u32 s3, 0, 0
	s_addc_u32 s3, s5, -1
	s_addk_i32 s4, 0xff
	s_add_i32 s8, s5, 0x7f
	s_ashr_i32 s9, s4, 31
	s_ashr_i32 s10, s8, 31
	s_lshr_b32 s9, s9, 24
	s_lshr_b32 s10, s10, 25
	s_add_i32 s4, s4, s9
	s_add_i32 s8, s8, s10
	s_ashr_i32 s4, s4, 8
	s_ashr_i32 s8, s8, 7
	s_abs_i32 s12, s15
	s_mul_i32 s9, s8, s4
	s_mul_i32 s3, s3, s16
	s_abs_i32 s9, s9
	v_and_b32_e32 v41, 16, v179
	v_cvt_f32_u32_e32 v1, s9
	s_sub_i32 s11, 0, s9
	v_and_b32_e32 v39, 0x200, v39
	v_and_b32_e32 v44, 0x400, v37
	v_or3_b32 v38, v40, v38, v41
	v_rcp_iflag_f32_e32 v1, v1
	v_and_b32_e32 v180, 56, v37
	v_and_or_b32 v35, v35, 48, v39
	v_mul_u32_u24_e32 v42, 0x810, v34
	v_lshlrev_b32_e32 v173, 4, v38
	v_and_b32_e32 v0, 15, v0
	v_lshl_or_b32 v181, v179, 6, v180
	s_delay_alu instid0(TRANS32_DEP_1) | instskip(NEXT) | instid1(VALU_DEP_3)
	v_mul_f32_e32 v1, 0x4f7ffffe, v1
	v_lshlrev_b32_e32 v43, 4, v0
	v_or3_b32 v182, v35, v44, v0
	s_delay_alu instid0(VALU_DEP_3) | instskip(NEXT) | instid1(VALU_DEP_3)
	v_cvt_u32_f32_e32 v1, v1
	v_and_or_b32 v49, 0x300, v37, v43
	s_delay_alu instid0(VALU_DEP_2) | instskip(NEXT) | instid1(VALU_DEP_1)
	v_readfirstlane_b32 s10, v1
	s_mul_i32 s11, s11, s10
	s_delay_alu instid0(SALU_CYCLE_1) | instskip(NEXT) | instid1(SALU_CYCLE_1)
	s_mul_hi_u32 s11, s10, s11
	s_add_i32 s10, s10, s11
	s_ashr_i32 s11, s15, 31
	s_mul_hi_u32 s10, s12, s10
	s_delay_alu instid0(SALU_CYCLE_1) | instskip(NEXT) | instid1(SALU_CYCLE_1)
	s_mul_i32 s10, s10, s9
	s_sub_i32 s10, s12, s10
	s_delay_alu instid0(SALU_CYCLE_1) | instskip(SKIP_2) | instid1(SALU_CYCLE_1)
	s_sub_i32 s12, s10, s9
	s_cmp_ge_u32 s10, s9
	s_cselect_b32 s10, s12, s10
	s_sub_i32 s12, s10, s9
	s_cmp_ge_u32 s10, s9
	s_cselect_b32 s9, s12, s10
	s_abs_i32 s10, s8
	s_xor_b32 s9, s9, s11
	v_cvt_f32_u32_e32 v1, s10
	s_sub_i32 s13, 0, s10
	s_sub_i32 s9, s9, s11
	s_delay_alu instid0(VALU_DEP_1) | instskip(SKIP_2) | instid1(VALU_DEP_1)
	v_rcp_iflag_f32_e32 v1, v1
	s_waitcnt_depctr 0xfff
	v_mul_f32_e32 v1, 0x4f7ffffe, v1
	v_cvt_u32_f32_e32 v1, v1
	s_delay_alu instid0(VALU_DEP_1) | instskip(NEXT) | instid1(VALU_DEP_1)
	v_readfirstlane_b32 s12, v1
	s_mul_i32 s13, s13, s12
	s_delay_alu instid0(SALU_CYCLE_1) | instskip(SKIP_2) | instid1(SALU_CYCLE_1)
	s_mul_hi_u32 s11, s12, s13
	s_abs_i32 s13, s9
	s_add_i32 s12, s12, s11
	s_mul_hi_u32 s11, s13, s12
	s_xor_b32 s12, s9, s8
	s_mul_i32 s14, s11, s10
	s_ashr_i32 s12, s12, 31
	s_sub_i32 s13, s13, s14
	s_add_i32 s14, s11, 1
	s_sub_i32 s15, s13, s10
	s_cmp_ge_u32 s13, s10
	s_cselect_b32 s11, s14, s11
	s_cselect_b32 s13, s15, s13
	s_add_i32 s14, s11, 1
	s_cmp_ge_u32 s13, s10
	s_cselect_b32 s10, s14, s11
	s_lshr_b32 s11, s4, 29
	s_xor_b32 s10, s10, s12
	s_add_i32 s11, s4, s11
	s_sub_i32 s10, s10, s12
	s_and_b32 s11, s11, -8
	s_mul_i32 s13, s10, s8
	s_sub_i32 s4, s4, s11
	s_cmp_ge_i32 s10, s11
	s_cselect_b32 s4, s4, 8
	s_ashr_i32 s12, s10, 31
	s_abs_i32 s11, s4
	s_lshr_b32 s12, s12, 29
	v_cvt_f32_u32_e32 v1, s11
	s_add_i32 s12, s10, s12
	s_sub_i32 s9, s9, s13
	s_and_b32 s12, s12, -8
	s_sub_i32 s13, 0, s11
	v_rcp_iflag_f32_e32 v1, v1
	s_sub_i32 s12, s10, s12
	s_delay_alu instid0(SALU_CYCLE_1) | instskip(NEXT) | instid1(SALU_CYCLE_1)
	s_mul_i32 s8, s12, s8
	s_add_i32 s8, s8, s9
	s_waitcnt_depctr 0xfff
	v_mul_f32_e32 v1, 0x4f7ffffe, v1
	s_delay_alu instid0(VALU_DEP_1) | instskip(NEXT) | instid1(VALU_DEP_1)
	v_cvt_u32_f32_e32 v1, v1
	v_readfirstlane_b32 s14, v1
	v_lshlrev_b32_e32 v1, 4, v34
	s_delay_alu instid0(VALU_DEP_2) | instskip(NEXT) | instid1(SALU_CYCLE_1)
	s_mul_i32 s13, s13, s14
	s_mul_hi_u32 s9, s14, s13
	s_abs_i32 s13, s8
	s_add_i32 s14, s14, s9
	s_delay_alu instid0(SALU_CYCLE_1)
	s_mul_hi_u32 s9, s13, s14
	s_xor_b32 s14, s8, s4
	s_mul_i32 s15, s9, s11
	s_ashr_i32 s14, s14, 31
	s_sub_i32 s13, s13, s15
	s_add_i32 s15, s9, 1
	s_sub_i32 s18, s13, s11
	s_cmp_ge_u32 s13, s11
	s_cselect_b32 s9, s15, s9
	s_cselect_b32 s13, s18, s13
	s_add_i32 s15, s9, 1
	s_cmp_ge_u32 s13, s11
	s_mov_b32 s11, 0x31004000
	s_cselect_b32 s9, s15, s9
	s_delay_alu instid0(SALU_CYCLE_1) | instskip(NEXT) | instid1(SALU_CYCLE_1)
	s_xor_b32 s9, s9, s14
	s_sub_i32 s9, s9, s14
	s_delay_alu instid0(SALU_CYCLE_1)
	s_mul_i32 s4, s9, s4
	s_lshl_b32 s18, s9, 7
	s_sub_i32 s4, s8, s4
	v_add_nc_u32_e32 v5, s18, v36
	s_add_i32 s4, s4, s10
	s_mul_i32 s10, s2, s7
	s_sub_i32 s4, s4, s12
	s_load_b128 s[12:15], s[0:1], 0x48
	s_lshl_b32 s4, s4, 8
	s_add_i32 s10, s6, s10
	v_add_nc_u32_e32 v4, s4, v33
	s_load_b64 s[0:1], s[0:1], 0x58
	v_or_b32_e32 v0, s18, v180
	s_mul_i32 s2, s2, s17
	s_delay_alu instid0(VALU_DEP_2) | instskip(SKIP_1) | instid1(VALU_DEP_1)
	v_mad_u64_u32 v[2:3], null, v4, s7, v[1:2]
	s_add_i32 s2, s5, s2
	v_mad_u64_u32 v[3:4], null, v5, s16, v[1:2]
	v_add_nc_u32_e32 v1, s7, v2
	s_waitcnt lgkmcnt(0)
	s_mov_b32 s8, s12
	s_mov_b32 s9, s13
	s_delay_alu instid0(VALU_DEP_1) | instskip(NEXT) | instid1(VALU_DEP_3)
	v_add_nc_u32_e32 v4, s7, v1
	v_add_nc_u32_e32 v5, s16, v3
	s_delay_alu instid0(VALU_DEP_2) | instskip(NEXT) | instid1(VALU_DEP_2)
	v_add_nc_u32_e32 v6, s7, v4
	v_add_nc_u32_e32 v7, 8, v5
	s_clause 0x3
	buffer_load_b128 v[9:12], v2, s[8:11], 0 offen
	buffer_load_b128 v[13:16], v1, s[8:11], 0 offen
	;; [unrolled: 1-line block ×4, first 2 shown]
	s_add_i32 s10, s6, s3
	s_mov_b32 s8, s14
	s_mov_b32 s9, s15
	s_clause 0x2
	buffer_load_b64 v[27:28], v7, s[8:11], 0 offen
	buffer_load_b128 v[29:32], v3, s[8:11], 0 offen
	buffer_load_b64 v[25:26], v5, s[8:11], 0 offen
	v_mov_b32_e32 v1, s20
	v_mov_b32_e32 v5, s24
	v_dual_mov_b32 v7, s26 :: v_dual_mov_b32 v4, s23
	v_dual_mov_b32 v2, s21 :: v_dual_lshlrev_b32 v33, 4, v33
	v_dual_mov_b32 v3, s22 :: v_dual_mov_b32 v6, s25
	v_mov_b32_e32 v8, s27
	s_delay_alu instid0(VALU_DEP_3)
	v_mad_u32_u24 v33, 0x1010, v34, v33
	v_lshl_add_u32 v34, v36, 4, v42
	s_mov_b32 s3, s11
	s_waitcnt vmcnt(6)
	ds_store_b128 v33, v[9:12]
	s_waitcnt vmcnt(5)
	ds_store_b128 v33, v[13:16] offset:16
	s_waitcnt vmcnt(4)
	ds_store_b128 v33, v[17:20] offset:32
	;; [unrolled: 2-line block ×5, first 2 shown]
	s_waitcnt lgkmcnt(0)
	s_barrier
	ds_load_b128 v[17:20], v173
	ds_load_b128 v[21:24], v49 offset:16432
	ds_load_b128 v[25:28], v49 offset:17456
	;; [unrolled: 1-line block ×25, first 2 shown]
	s_waitcnt lgkmcnt(24)
	v_wmma_i32_16x16x16_iu8 v[9:16], v[17:20], v[21:24], v[1:8] neg_lo:[1,1,0]
	ds_load_b128 v[121:124], v173 offset:6160
	ds_load_b128 v[125:128], v173 offset:6672
	;; [unrolled: 1-line block ×12, first 2 shown]
	s_waitcnt lgkmcnt(27)
	v_wmma_i32_16x16x16_iu8 v[9:16], v[57:60], v[29:32], v[9:16] neg_lo:[1,1,0]
	ds_load_b128 v[169:172], v173 offset:15408
	ds_load_b128 v[173:176], v173 offset:15920
	s_waitcnt lgkmcnt(0)
	s_barrier
	v_wmma_i32_16x16x16_iu8 v[9:16], v[65:68], v[37:40], v[9:16] neg_lo:[1,1,0]
	s_delay_alu instid0(VALU_DEP_1)
	v_wmma_i32_16x16x16_iu8 v[9:16], v[73:76], v[45:48], v[9:16] neg_lo:[1,1,0]
	ds_store_b8 v182, v9
	ds_store_b8 v182, v10 offset:64
	ds_store_b8 v182, v11 offset:128
	;; [unrolled: 1-line block ×7, first 2 shown]
	s_waitcnt lgkmcnt(0)
	s_barrier
	ds_load_2addr_b32 v[177:178], v181 offset1:1
	v_wmma_i32_16x16x16_iu8 v[9:16], v[17:20], v[25:28], v[1:8] neg_lo:[1,1,0]
	v_or_b32_e32 v19, s4, v179
	s_lshl_b32 s4, s17, 5
	s_delay_alu instid0(VALU_DEP_2) | instskip(NEXT) | instid1(VALU_DEP_2)
	v_wmma_i32_16x16x16_iu8 v[9:16], v[57:60], v[33:36], v[9:16] neg_lo:[1,1,0]
	v_mad_u64_u32 v[17:18], null, v19, s17, v[0:1]
	s_delay_alu instid0(VALU_DEP_2) | instskip(NEXT) | instid1(VALU_DEP_1)
	v_wmma_i32_16x16x16_iu8 v[9:16], v[65:68], v[41:44], v[9:16] neg_lo:[1,1,0]
	v_wmma_i32_16x16x16_iu8 v[9:16], v[73:76], v[49:52], v[9:16] neg_lo:[1,1,0]
	s_delay_alu instid0(VALU_DEP_3)
	v_add_nc_u32_e32 v0, s4, v17
	s_waitcnt lgkmcnt(0)
	buffer_store_b64 v[177:178], v17, s[0:3], 0 offen
	s_waitcnt lgkmcnt(0)
	s_waitcnt_vscnt null, 0x0
	s_barrier
	ds_store_b8 v182, v9
	ds_store_b8 v182, v10 offset:64
	ds_store_b8 v182, v11 offset:128
	;; [unrolled: 1-line block ×7, first 2 shown]
	s_waitcnt lgkmcnt(0)
	s_barrier
	ds_load_2addr_b32 v[18:19], v181 offset1:1
	v_wmma_i32_16x16x16_iu8 v[9:16], v[53:56], v[25:28], v[1:8] neg_lo:[1,1,0]
	s_delay_alu instid0(VALU_DEP_1) | instskip(NEXT) | instid1(VALU_DEP_1)
	v_wmma_i32_16x16x16_iu8 v[9:16], v[61:64], v[33:36], v[9:16] neg_lo:[1,1,0]
	v_wmma_i32_16x16x16_iu8 v[9:16], v[69:72], v[41:44], v[9:16] neg_lo:[1,1,0]
	s_delay_alu instid0(VALU_DEP_1)
	v_wmma_i32_16x16x16_iu8 v[9:16], v[77:80], v[49:52], v[9:16] neg_lo:[1,1,0]
	s_waitcnt lgkmcnt(0)
	buffer_store_b64 v[18:19], v17, s[0:3], 0 offen offset:64
	s_waitcnt lgkmcnt(0)
	s_waitcnt_vscnt null, 0x0
	s_barrier
	ds_store_b8 v182, v9
	ds_store_b8 v182, v10 offset:64
	ds_store_b8 v182, v11 offset:128
	;; [unrolled: 1-line block ×7, first 2 shown]
	s_waitcnt lgkmcnt(0)
	s_barrier
	ds_load_2addr_b32 v[18:19], v181 offset1:1
	v_wmma_i32_16x16x16_iu8 v[9:16], v[53:56], v[21:24], v[1:8] neg_lo:[1,1,0]
	v_add_nc_u32_e32 v17, 64, v0
	s_delay_alu instid0(VALU_DEP_2) | instskip(NEXT) | instid1(VALU_DEP_1)
	v_wmma_i32_16x16x16_iu8 v[9:16], v[61:64], v[29:32], v[9:16] neg_lo:[1,1,0]
	v_wmma_i32_16x16x16_iu8 v[9:16], v[69:72], v[37:40], v[9:16] neg_lo:[1,1,0]
	s_delay_alu instid0(VALU_DEP_1)
	v_wmma_i32_16x16x16_iu8 v[9:16], v[77:80], v[45:48], v[9:16] neg_lo:[1,1,0]
	s_waitcnt lgkmcnt(0)
	buffer_store_b64 v[18:19], v17, s[0:3], 0 offen
	s_waitcnt lgkmcnt(0)
	s_waitcnt_vscnt null, 0x0
	s_barrier
	ds_store_b8 v182, v9
	ds_store_b8 v182, v10 offset:64
	ds_store_b8 v182, v11 offset:128
	;; [unrolled: 1-line block ×7, first 2 shown]
	s_waitcnt lgkmcnt(0)
	s_barrier
	ds_load_2addr_b32 v[17:18], v181 offset1:1
	v_wmma_i32_16x16x16_iu8 v[9:16], v[81:84], v[21:24], v[1:8] neg_lo:[1,1,0]
	s_delay_alu instid0(VALU_DEP_1) | instskip(NEXT) | instid1(VALU_DEP_1)
	v_wmma_i32_16x16x16_iu8 v[9:16], v[89:92], v[29:32], v[9:16] neg_lo:[1,1,0]
	v_wmma_i32_16x16x16_iu8 v[9:16], v[97:100], v[37:40], v[9:16] neg_lo:[1,1,0]
	s_delay_alu instid0(VALU_DEP_1)
	v_wmma_i32_16x16x16_iu8 v[9:16], v[105:108], v[45:48], v[9:16] neg_lo:[1,1,0]
	s_waitcnt lgkmcnt(0)
	buffer_store_b64 v[17:18], v0, s[0:3], 0 offen
	s_waitcnt lgkmcnt(0)
	s_waitcnt_vscnt null, 0x0
	s_barrier
	ds_store_b8 v182, v9
	ds_store_b8 v182, v10 offset:64
	ds_store_b8 v182, v11 offset:128
	;; [unrolled: 1-line block ×7, first 2 shown]
	s_waitcnt lgkmcnt(0)
	s_barrier
	ds_load_2addr_b32 v[17:18], v181 offset1:1
	v_wmma_i32_16x16x16_iu8 v[9:16], v[81:84], v[25:28], v[1:8] neg_lo:[1,1,0]
	v_add_nc_u32_e32 v0, s4, v0
	s_delay_alu instid0(VALU_DEP_2) | instskip(NEXT) | instid1(VALU_DEP_1)
	v_wmma_i32_16x16x16_iu8 v[9:16], v[89:92], v[33:36], v[9:16] neg_lo:[1,1,0]
	v_wmma_i32_16x16x16_iu8 v[9:16], v[97:100], v[41:44], v[9:16] neg_lo:[1,1,0]
	s_delay_alu instid0(VALU_DEP_1)
	v_wmma_i32_16x16x16_iu8 v[9:16], v[105:108], v[49:52], v[9:16] neg_lo:[1,1,0]
	s_waitcnt lgkmcnt(0)
	buffer_store_b64 v[17:18], v0, s[0:3], 0 offen
	s_waitcnt lgkmcnt(0)
	s_waitcnt_vscnt null, 0x0
	s_barrier
	ds_store_b8 v182, v9
	ds_store_b8 v182, v10 offset:64
	ds_store_b8 v182, v11 offset:128
	;; [unrolled: 1-line block ×7, first 2 shown]
	s_waitcnt lgkmcnt(0)
	s_barrier
	ds_load_2addr_b32 v[17:18], v181 offset1:1
	v_wmma_i32_16x16x16_iu8 v[9:16], v[85:88], v[25:28], v[1:8] neg_lo:[1,1,0]
	s_delay_alu instid0(VALU_DEP_1) | instskip(NEXT) | instid1(VALU_DEP_1)
	v_wmma_i32_16x16x16_iu8 v[9:16], v[93:96], v[33:36], v[9:16] neg_lo:[1,1,0]
	v_wmma_i32_16x16x16_iu8 v[9:16], v[101:104], v[41:44], v[9:16] neg_lo:[1,1,0]
	s_delay_alu instid0(VALU_DEP_1)
	v_wmma_i32_16x16x16_iu8 v[9:16], v[109:112], v[49:52], v[9:16] neg_lo:[1,1,0]
	s_waitcnt lgkmcnt(0)
	buffer_store_b64 v[17:18], v0, s[0:3], 0 offen offset:64
	s_waitcnt lgkmcnt(0)
	s_waitcnt_vscnt null, 0x0
	s_barrier
	ds_store_b8 v182, v9
	ds_store_b8 v182, v10 offset:64
	ds_store_b8 v182, v11 offset:128
	;; [unrolled: 1-line block ×7, first 2 shown]
	s_waitcnt lgkmcnt(0)
	s_barrier
	ds_load_2addr_b32 v[17:18], v181 offset1:1
	v_wmma_i32_16x16x16_iu8 v[9:16], v[85:88], v[21:24], v[1:8] neg_lo:[1,1,0]
	v_add_nc_u32_e32 v0, s4, v0
	s_delay_alu instid0(VALU_DEP_2) | instskip(NEXT) | instid1(VALU_DEP_2)
	v_wmma_i32_16x16x16_iu8 v[9:16], v[93:96], v[29:32], v[9:16] neg_lo:[1,1,0]
	v_add_nc_u32_e32 v19, 64, v0
	s_delay_alu instid0(VALU_DEP_2) | instskip(NEXT) | instid1(VALU_DEP_1)
	v_wmma_i32_16x16x16_iu8 v[9:16], v[101:104], v[37:40], v[9:16] neg_lo:[1,1,0]
	v_wmma_i32_16x16x16_iu8 v[9:16], v[109:112], v[45:48], v[9:16] neg_lo:[1,1,0]
	s_waitcnt lgkmcnt(0)
	buffer_store_b64 v[17:18], v19, s[0:3], 0 offen
	s_waitcnt lgkmcnt(0)
	s_waitcnt_vscnt null, 0x0
	s_barrier
	ds_store_b8 v182, v9
	ds_store_b8 v182, v10 offset:64
	ds_store_b8 v182, v11 offset:128
	;; [unrolled: 1-line block ×7, first 2 shown]
	s_waitcnt lgkmcnt(0)
	s_barrier
	ds_load_2addr_b32 v[17:18], v181 offset1:1
	v_wmma_i32_16x16x16_iu8 v[9:16], v[113:116], v[21:24], v[1:8] neg_lo:[1,1,0]
	s_delay_alu instid0(VALU_DEP_1) | instskip(NEXT) | instid1(VALU_DEP_1)
	v_wmma_i32_16x16x16_iu8 v[9:16], v[121:124], v[29:32], v[9:16] neg_lo:[1,1,0]
	v_wmma_i32_16x16x16_iu8 v[9:16], v[129:132], v[37:40], v[9:16] neg_lo:[1,1,0]
	s_delay_alu instid0(VALU_DEP_1)
	v_wmma_i32_16x16x16_iu8 v[9:16], v[137:140], v[45:48], v[9:16] neg_lo:[1,1,0]
	s_waitcnt lgkmcnt(0)
	buffer_store_b64 v[17:18], v0, s[0:3], 0 offen
	s_waitcnt lgkmcnt(0)
	s_waitcnt_vscnt null, 0x0
	s_barrier
	ds_store_b8 v182, v9
	ds_store_b8 v182, v10 offset:64
	ds_store_b8 v182, v11 offset:128
	;; [unrolled: 1-line block ×7, first 2 shown]
	s_waitcnt lgkmcnt(0)
	s_barrier
	ds_load_2addr_b32 v[17:18], v181 offset1:1
	v_wmma_i32_16x16x16_iu8 v[9:16], v[113:116], v[25:28], v[1:8] neg_lo:[1,1,0]
	v_add_nc_u32_e32 v0, s4, v0
	s_delay_alu instid0(VALU_DEP_2) | instskip(NEXT) | instid1(VALU_DEP_1)
	v_wmma_i32_16x16x16_iu8 v[9:16], v[121:124], v[33:36], v[9:16] neg_lo:[1,1,0]
	v_wmma_i32_16x16x16_iu8 v[9:16], v[129:132], v[41:44], v[9:16] neg_lo:[1,1,0]
	s_delay_alu instid0(VALU_DEP_1)
	v_wmma_i32_16x16x16_iu8 v[9:16], v[137:140], v[49:52], v[9:16] neg_lo:[1,1,0]
	s_waitcnt lgkmcnt(0)
	buffer_store_b64 v[17:18], v0, s[0:3], 0 offen
	s_waitcnt lgkmcnt(0)
	s_waitcnt_vscnt null, 0x0
	s_barrier
	ds_store_b8 v182, v9
	ds_store_b8 v182, v10 offset:64
	ds_store_b8 v182, v11 offset:128
	;; [unrolled: 1-line block ×7, first 2 shown]
	s_waitcnt lgkmcnt(0)
	s_barrier
	ds_load_2addr_b32 v[17:18], v181 offset1:1
	v_wmma_i32_16x16x16_iu8 v[9:16], v[117:120], v[25:28], v[1:8] neg_lo:[1,1,0]
	s_delay_alu instid0(VALU_DEP_1) | instskip(NEXT) | instid1(VALU_DEP_1)
	v_wmma_i32_16x16x16_iu8 v[9:16], v[125:128], v[33:36], v[9:16] neg_lo:[1,1,0]
	v_wmma_i32_16x16x16_iu8 v[9:16], v[133:136], v[41:44], v[9:16] neg_lo:[1,1,0]
	s_delay_alu instid0(VALU_DEP_1)
	v_wmma_i32_16x16x16_iu8 v[9:16], v[141:144], v[49:52], v[9:16] neg_lo:[1,1,0]
	s_waitcnt lgkmcnt(0)
	buffer_store_b64 v[17:18], v0, s[0:3], 0 offen offset:64
	s_waitcnt lgkmcnt(0)
	s_waitcnt_vscnt null, 0x0
	s_barrier
	ds_store_b8 v182, v9
	ds_store_b8 v182, v10 offset:64
	ds_store_b8 v182, v11 offset:128
	;; [unrolled: 1-line block ×7, first 2 shown]
	s_waitcnt lgkmcnt(0)
	s_barrier
	ds_load_2addr_b32 v[17:18], v181 offset1:1
	v_wmma_i32_16x16x16_iu8 v[9:16], v[117:120], v[21:24], v[1:8] neg_lo:[1,1,0]
	v_add_nc_u32_e32 v0, s4, v0
	s_delay_alu instid0(VALU_DEP_2) | instskip(NEXT) | instid1(VALU_DEP_2)
	v_wmma_i32_16x16x16_iu8 v[9:16], v[125:128], v[29:32], v[9:16] neg_lo:[1,1,0]
	v_add_nc_u32_e32 v19, 64, v0
	s_delay_alu instid0(VALU_DEP_2) | instskip(NEXT) | instid1(VALU_DEP_1)
	v_wmma_i32_16x16x16_iu8 v[9:16], v[133:136], v[37:40], v[9:16] neg_lo:[1,1,0]
	v_wmma_i32_16x16x16_iu8 v[9:16], v[141:144], v[45:48], v[9:16] neg_lo:[1,1,0]
	s_waitcnt lgkmcnt(0)
	buffer_store_b64 v[17:18], v19, s[0:3], 0 offen
	s_waitcnt lgkmcnt(0)
	s_waitcnt_vscnt null, 0x0
	s_barrier
	ds_store_b8 v182, v9
	ds_store_b8 v182, v10 offset:64
	ds_store_b8 v182, v11 offset:128
	;; [unrolled: 1-line block ×7, first 2 shown]
	s_waitcnt lgkmcnt(0)
	s_barrier
	ds_load_2addr_b32 v[17:18], v181 offset1:1
	v_wmma_i32_16x16x16_iu8 v[9:16], v[145:148], v[21:24], v[1:8] neg_lo:[1,1,0]
	v_add_nc_u32_e32 v19, s4, v0
	s_delay_alu instid0(VALU_DEP_2) | instskip(NEXT) | instid1(VALU_DEP_1)
	v_wmma_i32_16x16x16_iu8 v[9:16], v[153:156], v[29:32], v[9:16] neg_lo:[1,1,0]
	v_wmma_i32_16x16x16_iu8 v[9:16], v[161:164], v[37:40], v[9:16] neg_lo:[1,1,0]
	s_delay_alu instid0(VALU_DEP_1)
	v_wmma_i32_16x16x16_iu8 v[9:16], v[169:172], v[45:48], v[9:16] neg_lo:[1,1,0]
	s_waitcnt lgkmcnt(0)
	buffer_store_b64 v[17:18], v0, s[0:3], 0 offen
	s_waitcnt lgkmcnt(0)
	s_waitcnt_vscnt null, 0x0
	s_barrier
	ds_store_b8 v182, v9
	ds_store_b8 v182, v10 offset:64
	ds_store_b8 v182, v11 offset:128
	;; [unrolled: 1-line block ×7, first 2 shown]
	s_waitcnt lgkmcnt(0)
	s_barrier
	ds_load_2addr_b32 v[17:18], v181 offset1:1
	v_wmma_i32_16x16x16_iu8 v[9:16], v[145:148], v[25:28], v[1:8] neg_lo:[1,1,0]
	s_delay_alu instid0(VALU_DEP_1) | instskip(NEXT) | instid1(VALU_DEP_1)
	v_wmma_i32_16x16x16_iu8 v[9:16], v[153:156], v[33:36], v[9:16] neg_lo:[1,1,0]
	v_wmma_i32_16x16x16_iu8 v[9:16], v[161:164], v[41:44], v[9:16] neg_lo:[1,1,0]
	s_delay_alu instid0(VALU_DEP_1)
	v_wmma_i32_16x16x16_iu8 v[9:16], v[169:172], v[49:52], v[9:16] neg_lo:[1,1,0]
	s_waitcnt lgkmcnt(0)
	buffer_store_b64 v[17:18], v19, s[0:3], 0 offen
	s_waitcnt lgkmcnt(0)
	s_waitcnt_vscnt null, 0x0
	s_barrier
	ds_store_b8 v182, v9
	ds_store_b8 v182, v10 offset:64
	ds_store_b8 v182, v11 offset:128
	ds_store_b8 v182, v12 offset:192
	ds_store_b8 v182, v13 offset:256
	ds_store_b8 v182, v14 offset:320
	ds_store_b8 v182, v15 offset:384
	ds_store_b8 v182, v16 offset:448
	s_waitcnt lgkmcnt(0)
	s_barrier
	ds_load_2addr_b32 v[17:18], v181 offset1:1
	v_wmma_i32_16x16x16_iu8 v[9:16], v[149:152], v[21:24], v[1:8] neg_lo:[1,1,0]
	v_wmma_i32_16x16x16_iu8 v[1:8], v[149:152], v[25:28], v[1:8] neg_lo:[1,1,0]
	s_delay_alu instid0(VALU_DEP_2) | instskip(NEXT) | instid1(VALU_DEP_2)
	v_wmma_i32_16x16x16_iu8 v[9:16], v[157:160], v[29:32], v[9:16] neg_lo:[1,1,0]
	v_wmma_i32_16x16x16_iu8 v[1:8], v[157:160], v[33:36], v[1:8] neg_lo:[1,1,0]
	s_delay_alu instid0(VALU_DEP_2) | instskip(NEXT) | instid1(VALU_DEP_2)
	;; [unrolled: 3-line block ×3, first 2 shown]
	v_wmma_i32_16x16x16_iu8 v[9:16], v[173:176], v[45:48], v[9:16] neg_lo:[1,1,0]
	v_wmma_i32_16x16x16_iu8 v[1:8], v[173:176], v[49:52], v[1:8] neg_lo:[1,1,0]
	s_waitcnt lgkmcnt(0)
	buffer_store_b64 v[17:18], v19, s[0:3], 0 offen offset:64
	s_waitcnt lgkmcnt(0)
	s_waitcnt_vscnt null, 0x0
	s_barrier
	ds_store_b8 v182, v1
	ds_store_b8 v182, v2 offset:64
	ds_store_b8 v182, v3 offset:128
	;; [unrolled: 1-line block ×7, first 2 shown]
	s_waitcnt lgkmcnt(0)
	s_barrier
	ds_load_2addr_b32 v[0:1], v181 offset1:1
	v_add_nc_u32_e32 v2, s4, v19
	s_delay_alu instid0(VALU_DEP_1)
	v_add_nc_u32_e32 v3, 64, v2
	s_waitcnt lgkmcnt(0)
	buffer_store_b64 v[0:1], v3, s[0:3], 0 offen
	s_waitcnt lgkmcnt(0)
	s_waitcnt_vscnt null, 0x0
	s_barrier
	ds_store_b8 v182, v9
	ds_store_b8 v182, v10 offset:64
	ds_store_b8 v182, v11 offset:128
	;; [unrolled: 1-line block ×7, first 2 shown]
	s_waitcnt lgkmcnt(0)
	s_barrier
	ds_load_2addr_b32 v[0:1], v181 offset1:1
	s_waitcnt lgkmcnt(0)
	buffer_store_b64 v[0:1], v2, s[0:3], 0 offen
	s_nop 0
	s_sendmsg sendmsg(MSG_DEALLOC_VGPRS)
	s_endpgm
	.section	.rodata,"a",@progbits
	.p2align	6, 0x0
	.amdhsa_kernel _ZN2ck27kernel_gemm_xdl_cshuffle_v1INS_43GridwiseGemm_k0mk1_k0nk1_mn_xdl_cshuffle_v1INS_13tensor_layout4gemm8RowMajorENS3_11ColumnMajorES4_aaiaaNS_16tensor_operation12element_wise11PassThroughES8_S8_LNS6_6device18GemmSpecializationE0ELNS_25InMemoryDataOperationEnumE0ELi1ELi256ELi256ELi128ELi64ELi16ELi16ELi16ELi16ELi8ELi2ENS_8SequenceIJLi4ELi64ELi1EEEENSC_IJLi1ELi0ELi2EEEESE_Li2ELi16ELi16ELb0ELi1ESD_SE_SE_Li2ELi8ELi8ELb0ELi1ELi1ELi1ENSC_IJLi1ELi32ELi1ELi8EEEELi4ELNS_13LoopSchedulerE0ELNS_15PipelineVersionE0EaaEELb0EEEvNT_8ArgumentE
		.amdhsa_group_segment_fixed_size 24672
		.amdhsa_private_segment_fixed_size 0
		.amdhsa_kernarg_size 96
		.amdhsa_user_sgpr_count 15
		.amdhsa_user_sgpr_dispatch_ptr 0
		.amdhsa_user_sgpr_queue_ptr 0
		.amdhsa_user_sgpr_kernarg_segment_ptr 1
		.amdhsa_user_sgpr_dispatch_id 0
		.amdhsa_user_sgpr_private_segment_size 0
		.amdhsa_wavefront_size32 1
		.amdhsa_uses_dynamic_stack 0
		.amdhsa_enable_private_segment 0
		.amdhsa_system_sgpr_workgroup_id_x 1
		.amdhsa_system_sgpr_workgroup_id_y 0
		.amdhsa_system_sgpr_workgroup_id_z 0
		.amdhsa_system_sgpr_workgroup_info 0
		.amdhsa_system_vgpr_workitem_id 0
		.amdhsa_next_free_vgpr 183
		.amdhsa_next_free_sgpr 28
		.amdhsa_reserve_vcc 0
		.amdhsa_float_round_mode_32 0
		.amdhsa_float_round_mode_16_64 0
		.amdhsa_float_denorm_mode_32 3
		.amdhsa_float_denorm_mode_16_64 3
		.amdhsa_dx10_clamp 1
		.amdhsa_ieee_mode 1
		.amdhsa_fp16_overflow 0
		.amdhsa_workgroup_processor_mode 1
		.amdhsa_memory_ordered 1
		.amdhsa_forward_progress 0
		.amdhsa_shared_vgpr_count 0
		.amdhsa_exception_fp_ieee_invalid_op 0
		.amdhsa_exception_fp_denorm_src 0
		.amdhsa_exception_fp_ieee_div_zero 0
		.amdhsa_exception_fp_ieee_overflow 0
		.amdhsa_exception_fp_ieee_underflow 0
		.amdhsa_exception_fp_ieee_inexact 0
		.amdhsa_exception_int_div_zero 0
	.end_amdhsa_kernel
	.section	.text._ZN2ck27kernel_gemm_xdl_cshuffle_v1INS_43GridwiseGemm_k0mk1_k0nk1_mn_xdl_cshuffle_v1INS_13tensor_layout4gemm8RowMajorENS3_11ColumnMajorES4_aaiaaNS_16tensor_operation12element_wise11PassThroughES8_S8_LNS6_6device18GemmSpecializationE0ELNS_25InMemoryDataOperationEnumE0ELi1ELi256ELi256ELi128ELi64ELi16ELi16ELi16ELi16ELi8ELi2ENS_8SequenceIJLi4ELi64ELi1EEEENSC_IJLi1ELi0ELi2EEEESE_Li2ELi16ELi16ELb0ELi1ESD_SE_SE_Li2ELi8ELi8ELb0ELi1ELi1ELi1ENSC_IJLi1ELi32ELi1ELi8EEEELi4ELNS_13LoopSchedulerE0ELNS_15PipelineVersionE0EaaEELb0EEEvNT_8ArgumentE,"axG",@progbits,_ZN2ck27kernel_gemm_xdl_cshuffle_v1INS_43GridwiseGemm_k0mk1_k0nk1_mn_xdl_cshuffle_v1INS_13tensor_layout4gemm8RowMajorENS3_11ColumnMajorES4_aaiaaNS_16tensor_operation12element_wise11PassThroughES8_S8_LNS6_6device18GemmSpecializationE0ELNS_25InMemoryDataOperationEnumE0ELi1ELi256ELi256ELi128ELi64ELi16ELi16ELi16ELi16ELi8ELi2ENS_8SequenceIJLi4ELi64ELi1EEEENSC_IJLi1ELi0ELi2EEEESE_Li2ELi16ELi16ELb0ELi1ESD_SE_SE_Li2ELi8ELi8ELb0ELi1ELi1ELi1ENSC_IJLi1ELi32ELi1ELi8EEEELi4ELNS_13LoopSchedulerE0ELNS_15PipelineVersionE0EaaEELb0EEEvNT_8ArgumentE,comdat
.Lfunc_end4:
	.size	_ZN2ck27kernel_gemm_xdl_cshuffle_v1INS_43GridwiseGemm_k0mk1_k0nk1_mn_xdl_cshuffle_v1INS_13tensor_layout4gemm8RowMajorENS3_11ColumnMajorES4_aaiaaNS_16tensor_operation12element_wise11PassThroughES8_S8_LNS6_6device18GemmSpecializationE0ELNS_25InMemoryDataOperationEnumE0ELi1ELi256ELi256ELi128ELi64ELi16ELi16ELi16ELi16ELi8ELi2ENS_8SequenceIJLi4ELi64ELi1EEEENSC_IJLi1ELi0ELi2EEEESE_Li2ELi16ELi16ELb0ELi1ESD_SE_SE_Li2ELi8ELi8ELb0ELi1ELi1ELi1ENSC_IJLi1ELi32ELi1ELi8EEEELi4ELNS_13LoopSchedulerE0ELNS_15PipelineVersionE0EaaEELb0EEEvNT_8ArgumentE, .Lfunc_end4-_ZN2ck27kernel_gemm_xdl_cshuffle_v1INS_43GridwiseGemm_k0mk1_k0nk1_mn_xdl_cshuffle_v1INS_13tensor_layout4gemm8RowMajorENS3_11ColumnMajorES4_aaiaaNS_16tensor_operation12element_wise11PassThroughES8_S8_LNS6_6device18GemmSpecializationE0ELNS_25InMemoryDataOperationEnumE0ELi1ELi256ELi256ELi128ELi64ELi16ELi16ELi16ELi16ELi8ELi2ENS_8SequenceIJLi4ELi64ELi1EEEENSC_IJLi1ELi0ELi2EEEESE_Li2ELi16ELi16ELb0ELi1ESD_SE_SE_Li2ELi8ELi8ELb0ELi1ELi1ELi1ENSC_IJLi1ELi32ELi1ELi8EEEELi4ELNS_13LoopSchedulerE0ELNS_15PipelineVersionE0EaaEELb0EEEvNT_8ArgumentE
                                        ; -- End function
	.section	.AMDGPU.csdata,"",@progbits
; Kernel info:
; codeLenInByte = 3760
; NumSgprs: 28
; NumVgprs: 183
; ScratchSize: 0
; MemoryBound: 0
; FloatMode: 240
; IeeeMode: 1
; LDSByteSize: 24672 bytes/workgroup (compile time only)
; SGPRBlocks: 3
; VGPRBlocks: 22
; NumSGPRsForWavesPerEU: 28
; NumVGPRsForWavesPerEU: 183
; Occupancy: 8
; WaveLimiterHint : 0
; COMPUTE_PGM_RSRC2:SCRATCH_EN: 0
; COMPUTE_PGM_RSRC2:USER_SGPR: 15
; COMPUTE_PGM_RSRC2:TRAP_HANDLER: 0
; COMPUTE_PGM_RSRC2:TGID_X_EN: 1
; COMPUTE_PGM_RSRC2:TGID_Y_EN: 0
; COMPUTE_PGM_RSRC2:TGID_Z_EN: 0
; COMPUTE_PGM_RSRC2:TIDIG_COMP_CNT: 0
	.section	.text._ZN2ck17naive_gemm_kernelINS_13tensor_layout4gemm8RowMajorENS2_11ColumnMajorES3_aaaiNS_16tensor_operation12element_wise11PassThroughES7_S7_aaEEvPKT2_PKT3_PT4_iiiT6_T7_T8_,"axG",@progbits,_ZN2ck17naive_gemm_kernelINS_13tensor_layout4gemm8RowMajorENS2_11ColumnMajorES3_aaaiNS_16tensor_operation12element_wise11PassThroughES7_S7_aaEEvPKT2_PKT3_PT4_iiiT6_T7_T8_,comdat
	.protected	_ZN2ck17naive_gemm_kernelINS_13tensor_layout4gemm8RowMajorENS2_11ColumnMajorES3_aaaiNS_16tensor_operation12element_wise11PassThroughES7_S7_aaEEvPKT2_PKT3_PT4_iiiT6_T7_T8_ ; -- Begin function _ZN2ck17naive_gemm_kernelINS_13tensor_layout4gemm8RowMajorENS2_11ColumnMajorES3_aaaiNS_16tensor_operation12element_wise11PassThroughES7_S7_aaEEvPKT2_PKT3_PT4_iiiT6_T7_T8_
	.globl	_ZN2ck17naive_gemm_kernelINS_13tensor_layout4gemm8RowMajorENS2_11ColumnMajorES3_aaaiNS_16tensor_operation12element_wise11PassThroughES7_S7_aaEEvPKT2_PKT3_PT4_iiiT6_T7_T8_
	.p2align	8
	.type	_ZN2ck17naive_gemm_kernelINS_13tensor_layout4gemm8RowMajorENS2_11ColumnMajorES3_aaaiNS_16tensor_operation12element_wise11PassThroughES7_S7_aaEEvPKT2_PKT3_PT4_iiiT6_T7_T8_,@function
_ZN2ck17naive_gemm_kernelINS_13tensor_layout4gemm8RowMajorENS2_11ColumnMajorES3_aaaiNS_16tensor_operation12element_wise11PassThroughES7_S7_aaEEvPKT2_PKT3_PT4_iiiT6_T7_T8_: ; @_ZN2ck17naive_gemm_kernelINS_13tensor_layout4gemm8RowMajorENS2_11ColumnMajorES3_aaaiNS_16tensor_operation12element_wise11PassThroughES7_S7_aaEEvPKT2_PKT3_PT4_iiiT6_T7_T8_
; %bb.0:
	s_clause 0x1
	s_load_b32 s2, s[0:1], 0x34
	s_load_b128 s[4:7], s[0:1], 0x18
	v_and_b32_e32 v2, 0x3ff, v0
	v_bfe_u32 v3, v0, 10, 10
	s_waitcnt lgkmcnt(0)
	s_lshr_b32 s3, s2, 16
	s_and_b32 s2, s2, 0xffff
	s_delay_alu instid0(VALU_DEP_1) | instid1(SALU_CYCLE_1)
	v_mad_u64_u32 v[0:1], null, s14, s2, v[2:3]
	v_mad_u64_u32 v[1:2], null, s15, s3, v[3:4]
	s_delay_alu instid0(VALU_DEP_2) | instskip(NEXT) | instid1(VALU_DEP_2)
	v_cmp_gt_i32_e32 vcc_lo, s4, v0
	v_cmp_gt_i32_e64 s2, s5, v1
	s_delay_alu instid0(VALU_DEP_1) | instskip(NEXT) | instid1(SALU_CYCLE_1)
	s_and_b32 s2, vcc_lo, s2
	s_and_saveexec_b32 s3, s2
	s_cbranch_execz .LBB5_6
; %bb.1:
	s_load_b64 s[2:3], s[0:1], 0x10
	s_cmp_lt_i32 s6, 1
	s_cbranch_scc1 .LBB5_4
; %bb.2:
	s_load_b128 s[8:11], s[0:1], 0x0
	v_mul_lo_u32 v2, v1, s6
	v_mul_lo_u32 v4, v0, s6
	v_mov_b32_e32 v6, 0
	s_delay_alu instid0(VALU_DEP_3) | instskip(NEXT) | instid1(VALU_DEP_3)
	v_ashrrev_i32_e32 v3, 31, v2
	v_ashrrev_i32_e32 v5, 31, v4
	s_waitcnt lgkmcnt(0)
	v_add_co_u32 v2, vcc_lo, s10, v2
	s_delay_alu instid0(VALU_DEP_3)
	v_add_co_ci_u32_e32 v3, vcc_lo, s11, v3, vcc_lo
	v_add_co_u32 v4, vcc_lo, s8, v4
	v_add_co_ci_u32_e32 v5, vcc_lo, s9, v5, vcc_lo
.LBB5_3:                                ; =>This Inner Loop Header: Depth=1
	global_load_u8 v7, v[4:5], off
	global_load_u8 v8, v[2:3], off
	v_add_co_u32 v2, vcc_lo, v2, 1
	v_add_co_ci_u32_e32 v3, vcc_lo, 0, v3, vcc_lo
	v_add_co_u32 v4, vcc_lo, v4, 1
	v_add_co_ci_u32_e32 v5, vcc_lo, 0, v5, vcc_lo
	s_add_i32 s6, s6, -1
	s_delay_alu instid0(SALU_CYCLE_1)
	s_cmp_eq_u32 s6, 0
	s_waitcnt vmcnt(0)
	v_mad_u32_u24 v6, v8, v7, v6
	s_cbranch_scc0 .LBB5_3
	s_branch .LBB5_5
.LBB5_4:
	v_mov_b32_e32 v6, 0
.LBB5_5:
	v_mad_u64_u32 v[2:3], null, v0, s5, v[1:2]
	s_delay_alu instid0(VALU_DEP_1) | instskip(SKIP_2) | instid1(VALU_DEP_2)
	v_ashrrev_i32_e32 v1, 31, v2
	s_waitcnt lgkmcnt(0)
	v_add_co_u32 v0, vcc_lo, s2, v2
	v_add_co_ci_u32_e32 v1, vcc_lo, s3, v1, vcc_lo
	global_store_b8 v[0:1], v6, off
.LBB5_6:
	s_nop 0
	s_sendmsg sendmsg(MSG_DEALLOC_VGPRS)
	s_endpgm
	.section	.rodata,"a",@progbits
	.p2align	6, 0x0
	.amdhsa_kernel _ZN2ck17naive_gemm_kernelINS_13tensor_layout4gemm8RowMajorENS2_11ColumnMajorES3_aaaiNS_16tensor_operation12element_wise11PassThroughES7_S7_aaEEvPKT2_PKT3_PT4_iiiT6_T7_T8_
		.amdhsa_group_segment_fixed_size 0
		.amdhsa_private_segment_fixed_size 0
		.amdhsa_kernarg_size 296
		.amdhsa_user_sgpr_count 14
		.amdhsa_user_sgpr_dispatch_ptr 0
		.amdhsa_user_sgpr_queue_ptr 0
		.amdhsa_user_sgpr_kernarg_segment_ptr 1
		.amdhsa_user_sgpr_dispatch_id 0
		.amdhsa_user_sgpr_private_segment_size 0
		.amdhsa_wavefront_size32 1
		.amdhsa_uses_dynamic_stack 0
		.amdhsa_enable_private_segment 0
		.amdhsa_system_sgpr_workgroup_id_x 1
		.amdhsa_system_sgpr_workgroup_id_y 1
		.amdhsa_system_sgpr_workgroup_id_z 0
		.amdhsa_system_sgpr_workgroup_info 0
		.amdhsa_system_vgpr_workitem_id 1
		.amdhsa_next_free_vgpr 9
		.amdhsa_next_free_sgpr 16
		.amdhsa_reserve_vcc 1
		.amdhsa_float_round_mode_32 0
		.amdhsa_float_round_mode_16_64 0
		.amdhsa_float_denorm_mode_32 3
		.amdhsa_float_denorm_mode_16_64 3
		.amdhsa_dx10_clamp 1
		.amdhsa_ieee_mode 1
		.amdhsa_fp16_overflow 0
		.amdhsa_workgroup_processor_mode 1
		.amdhsa_memory_ordered 1
		.amdhsa_forward_progress 0
		.amdhsa_shared_vgpr_count 0
		.amdhsa_exception_fp_ieee_invalid_op 0
		.amdhsa_exception_fp_denorm_src 0
		.amdhsa_exception_fp_ieee_div_zero 0
		.amdhsa_exception_fp_ieee_overflow 0
		.amdhsa_exception_fp_ieee_underflow 0
		.amdhsa_exception_fp_ieee_inexact 0
		.amdhsa_exception_int_div_zero 0
	.end_amdhsa_kernel
	.section	.text._ZN2ck17naive_gemm_kernelINS_13tensor_layout4gemm8RowMajorENS2_11ColumnMajorES3_aaaiNS_16tensor_operation12element_wise11PassThroughES7_S7_aaEEvPKT2_PKT3_PT4_iiiT6_T7_T8_,"axG",@progbits,_ZN2ck17naive_gemm_kernelINS_13tensor_layout4gemm8RowMajorENS2_11ColumnMajorES3_aaaiNS_16tensor_operation12element_wise11PassThroughES7_S7_aaEEvPKT2_PKT3_PT4_iiiT6_T7_T8_,comdat
.Lfunc_end5:
	.size	_ZN2ck17naive_gemm_kernelINS_13tensor_layout4gemm8RowMajorENS2_11ColumnMajorES3_aaaiNS_16tensor_operation12element_wise11PassThroughES7_S7_aaEEvPKT2_PKT3_PT4_iiiT6_T7_T8_, .Lfunc_end5-_ZN2ck17naive_gemm_kernelINS_13tensor_layout4gemm8RowMajorENS2_11ColumnMajorES3_aaaiNS_16tensor_operation12element_wise11PassThroughES7_S7_aaEEvPKT2_PKT3_PT4_iiiT6_T7_T8_
                                        ; -- End function
	.section	.AMDGPU.csdata,"",@progbits
; Kernel info:
; codeLenInByte = 320
; NumSgprs: 18
; NumVgprs: 9
; ScratchSize: 0
; MemoryBound: 0
; FloatMode: 240
; IeeeMode: 1
; LDSByteSize: 0 bytes/workgroup (compile time only)
; SGPRBlocks: 2
; VGPRBlocks: 1
; NumSGPRsForWavesPerEU: 18
; NumVGPRsForWavesPerEU: 9
; Occupancy: 16
; WaveLimiterHint : 0
; COMPUTE_PGM_RSRC2:SCRATCH_EN: 0
; COMPUTE_PGM_RSRC2:USER_SGPR: 14
; COMPUTE_PGM_RSRC2:TRAP_HANDLER: 0
; COMPUTE_PGM_RSRC2:TGID_X_EN: 1
; COMPUTE_PGM_RSRC2:TGID_Y_EN: 1
; COMPUTE_PGM_RSRC2:TGID_Z_EN: 0
; COMPUTE_PGM_RSRC2:TIDIG_COMP_CNT: 1
	.text
	.p2alignl 7, 3214868480
	.fill 96, 4, 3214868480
	.type	__hip_cuid_6025021f1aeeef72,@object ; @__hip_cuid_6025021f1aeeef72
	.section	.bss,"aw",@nobits
	.globl	__hip_cuid_6025021f1aeeef72
__hip_cuid_6025021f1aeeef72:
	.byte	0                               ; 0x0
	.size	__hip_cuid_6025021f1aeeef72, 1

	.ident	"AMD clang version 19.0.0git (https://github.com/RadeonOpenCompute/llvm-project roc-6.4.0 25133 c7fe45cf4b819c5991fe208aaa96edf142730f1d)"
	.section	".note.GNU-stack","",@progbits
	.addrsig
	.addrsig_sym __hip_cuid_6025021f1aeeef72
	.amdgpu_metadata
---
amdhsa.kernels:
  - .args:           []
    .group_segment_fixed_size: 0
    .kernarg_segment_align: 4
    .kernarg_segment_size: 0
    .language:       OpenCL C
    .language_version:
      - 2
      - 0
    .max_flat_workgroup_size: 1024
    .name:           _ZN2ckL12flush_icacheEv
    .private_segment_fixed_size: 0
    .sgpr_count:     0
    .sgpr_spill_count: 0
    .symbol:         _ZN2ckL12flush_icacheEv.kd
    .uniform_work_group_size: 1
    .uses_dynamic_stack: false
    .vgpr_count:     0
    .vgpr_spill_count: 0
    .wavefront_size: 32
    .workgroup_processor_mode: 1
  - .args:
      - .offset:         0
        .size:           96
        .value_kind:     by_value
    .group_segment_fixed_size: 0
    .kernarg_segment_align: 8
    .kernarg_segment_size: 96
    .language:       OpenCL C
    .language_version:
      - 2
      - 0
    .max_flat_workgroup_size: 256
    .name:           _ZN2ck27kernel_gemm_xdl_cshuffle_v1INS_43GridwiseGemm_k0mk1_k0nk1_mn_xdl_cshuffle_v1INS_13tensor_layout4gemm8RowMajorENS3_11ColumnMajorES4_aaiaaNS_16tensor_operation12element_wise11PassThroughES8_S8_LNS6_6device18GemmSpecializationE0ELNS_25InMemoryDataOperationEnumE0ELi1ELi256ELi256ELi128ELi64ELi16ELi16ELi16ELi16ELi8ELi4ENS_8SequenceIJLi4ELi64ELi1EEEENSC_IJLi1ELi0ELi2EEEESE_Li2ELi16ELi16ELb0ELi1ESD_SE_SE_Li2ELi8ELi8ELb0ELi1ELi1ELi1ENSC_IJLi1ELi32ELi1ELi8EEEELi4ELNS_13LoopSchedulerE0ELNS_15PipelineVersionE0EaaEELb1EEEvNT_8ArgumentE
    .private_segment_fixed_size: 0
    .sgpr_count:     0
    .sgpr_spill_count: 0
    .symbol:         _ZN2ck27kernel_gemm_xdl_cshuffle_v1INS_43GridwiseGemm_k0mk1_k0nk1_mn_xdl_cshuffle_v1INS_13tensor_layout4gemm8RowMajorENS3_11ColumnMajorES4_aaiaaNS_16tensor_operation12element_wise11PassThroughES8_S8_LNS6_6device18GemmSpecializationE0ELNS_25InMemoryDataOperationEnumE0ELi1ELi256ELi256ELi128ELi64ELi16ELi16ELi16ELi16ELi8ELi4ENS_8SequenceIJLi4ELi64ELi1EEEENSC_IJLi1ELi0ELi2EEEESE_Li2ELi16ELi16ELb0ELi1ESD_SE_SE_Li2ELi8ELi8ELb0ELi1ELi1ELi1ENSC_IJLi1ELi32ELi1ELi8EEEELi4ELNS_13LoopSchedulerE0ELNS_15PipelineVersionE0EaaEELb1EEEvNT_8ArgumentE.kd
    .uniform_work_group_size: 1
    .uses_dynamic_stack: false
    .vgpr_count:     0
    .vgpr_spill_count: 0
    .wavefront_size: 32
    .workgroup_processor_mode: 1
  - .args:
      - .offset:         0
        .size:           96
        .value_kind:     by_value
    .group_segment_fixed_size: 0
    .kernarg_segment_align: 8
    .kernarg_segment_size: 96
    .language:       OpenCL C
    .language_version:
      - 2
      - 0
    .max_flat_workgroup_size: 256
    .name:           _ZN2ck27kernel_gemm_xdl_cshuffle_v1INS_43GridwiseGemm_k0mk1_k0nk1_mn_xdl_cshuffle_v1INS_13tensor_layout4gemm8RowMajorENS3_11ColumnMajorES4_aaiaaNS_16tensor_operation12element_wise11PassThroughES8_S8_LNS6_6device18GemmSpecializationE0ELNS_25InMemoryDataOperationEnumE0ELi1ELi256ELi256ELi128ELi64ELi16ELi16ELi16ELi16ELi8ELi4ENS_8SequenceIJLi4ELi64ELi1EEEENSC_IJLi1ELi0ELi2EEEESE_Li2ELi16ELi16ELb0ELi1ESD_SE_SE_Li2ELi8ELi8ELb0ELi1ELi1ELi1ENSC_IJLi1ELi32ELi1ELi8EEEELi4ELNS_13LoopSchedulerE0ELNS_15PipelineVersionE0EaaEELb0EEEvNT_8ArgumentE
    .private_segment_fixed_size: 0
    .sgpr_count:     0
    .sgpr_spill_count: 0
    .symbol:         _ZN2ck27kernel_gemm_xdl_cshuffle_v1INS_43GridwiseGemm_k0mk1_k0nk1_mn_xdl_cshuffle_v1INS_13tensor_layout4gemm8RowMajorENS3_11ColumnMajorES4_aaiaaNS_16tensor_operation12element_wise11PassThroughES8_S8_LNS6_6device18GemmSpecializationE0ELNS_25InMemoryDataOperationEnumE0ELi1ELi256ELi256ELi128ELi64ELi16ELi16ELi16ELi16ELi8ELi4ENS_8SequenceIJLi4ELi64ELi1EEEENSC_IJLi1ELi0ELi2EEEESE_Li2ELi16ELi16ELb0ELi1ESD_SE_SE_Li2ELi8ELi8ELb0ELi1ELi1ELi1ENSC_IJLi1ELi32ELi1ELi8EEEELi4ELNS_13LoopSchedulerE0ELNS_15PipelineVersionE0EaaEELb0EEEvNT_8ArgumentE.kd
    .uniform_work_group_size: 1
    .uses_dynamic_stack: false
    .vgpr_count:     0
    .vgpr_spill_count: 0
    .wavefront_size: 32
    .workgroup_processor_mode: 1
  - .args:
      - .offset:         0
        .size:           96
        .value_kind:     by_value
    .group_segment_fixed_size: 24672
    .kernarg_segment_align: 8
    .kernarg_segment_size: 96
    .language:       OpenCL C
    .language_version:
      - 2
      - 0
    .max_flat_workgroup_size: 256
    .name:           _ZN2ck27kernel_gemm_xdl_cshuffle_v1INS_43GridwiseGemm_k0mk1_k0nk1_mn_xdl_cshuffle_v1INS_13tensor_layout4gemm8RowMajorENS3_11ColumnMajorES4_aaiaaNS_16tensor_operation12element_wise11PassThroughES8_S8_LNS6_6device18GemmSpecializationE0ELNS_25InMemoryDataOperationEnumE0ELi1ELi256ELi256ELi128ELi64ELi16ELi16ELi16ELi16ELi8ELi2ENS_8SequenceIJLi4ELi64ELi1EEEENSC_IJLi1ELi0ELi2EEEESE_Li2ELi16ELi16ELb0ELi1ESD_SE_SE_Li2ELi8ELi8ELb0ELi1ELi1ELi1ENSC_IJLi1ELi32ELi1ELi8EEEELi4ELNS_13LoopSchedulerE0ELNS_15PipelineVersionE0EaaEELb1EEEvNT_8ArgumentE
    .private_segment_fixed_size: 0
    .sgpr_count:     24
    .sgpr_spill_count: 0
    .symbol:         _ZN2ck27kernel_gemm_xdl_cshuffle_v1INS_43GridwiseGemm_k0mk1_k0nk1_mn_xdl_cshuffle_v1INS_13tensor_layout4gemm8RowMajorENS3_11ColumnMajorES4_aaiaaNS_16tensor_operation12element_wise11PassThroughES8_S8_LNS6_6device18GemmSpecializationE0ELNS_25InMemoryDataOperationEnumE0ELi1ELi256ELi256ELi128ELi64ELi16ELi16ELi16ELi16ELi8ELi2ENS_8SequenceIJLi4ELi64ELi1EEEENSC_IJLi1ELi0ELi2EEEESE_Li2ELi16ELi16ELb0ELi1ESD_SE_SE_Li2ELi8ELi8ELb0ELi1ELi1ELi1ENSC_IJLi1ELi32ELi1ELi8EEEELi4ELNS_13LoopSchedulerE0ELNS_15PipelineVersionE0EaaEELb1EEEvNT_8ArgumentE.kd
    .uniform_work_group_size: 1
    .uses_dynamic_stack: false
    .vgpr_count:     188
    .vgpr_spill_count: 0
    .wavefront_size: 32
    .workgroup_processor_mode: 1
  - .args:
      - .offset:         0
        .size:           96
        .value_kind:     by_value
    .group_segment_fixed_size: 24672
    .kernarg_segment_align: 8
    .kernarg_segment_size: 96
    .language:       OpenCL C
    .language_version:
      - 2
      - 0
    .max_flat_workgroup_size: 256
    .name:           _ZN2ck27kernel_gemm_xdl_cshuffle_v1INS_43GridwiseGemm_k0mk1_k0nk1_mn_xdl_cshuffle_v1INS_13tensor_layout4gemm8RowMajorENS3_11ColumnMajorES4_aaiaaNS_16tensor_operation12element_wise11PassThroughES8_S8_LNS6_6device18GemmSpecializationE0ELNS_25InMemoryDataOperationEnumE0ELi1ELi256ELi256ELi128ELi64ELi16ELi16ELi16ELi16ELi8ELi2ENS_8SequenceIJLi4ELi64ELi1EEEENSC_IJLi1ELi0ELi2EEEESE_Li2ELi16ELi16ELb0ELi1ESD_SE_SE_Li2ELi8ELi8ELb0ELi1ELi1ELi1ENSC_IJLi1ELi32ELi1ELi8EEEELi4ELNS_13LoopSchedulerE0ELNS_15PipelineVersionE0EaaEELb0EEEvNT_8ArgumentE
    .private_segment_fixed_size: 0
    .sgpr_count:     28
    .sgpr_spill_count: 0
    .symbol:         _ZN2ck27kernel_gemm_xdl_cshuffle_v1INS_43GridwiseGemm_k0mk1_k0nk1_mn_xdl_cshuffle_v1INS_13tensor_layout4gemm8RowMajorENS3_11ColumnMajorES4_aaiaaNS_16tensor_operation12element_wise11PassThroughES8_S8_LNS6_6device18GemmSpecializationE0ELNS_25InMemoryDataOperationEnumE0ELi1ELi256ELi256ELi128ELi64ELi16ELi16ELi16ELi16ELi8ELi2ENS_8SequenceIJLi4ELi64ELi1EEEENSC_IJLi1ELi0ELi2EEEESE_Li2ELi16ELi16ELb0ELi1ESD_SE_SE_Li2ELi8ELi8ELb0ELi1ELi1ELi1ENSC_IJLi1ELi32ELi1ELi8EEEELi4ELNS_13LoopSchedulerE0ELNS_15PipelineVersionE0EaaEELb0EEEvNT_8ArgumentE.kd
    .uniform_work_group_size: 1
    .uses_dynamic_stack: false
    .vgpr_count:     183
    .vgpr_spill_count: 0
    .wavefront_size: 32
    .workgroup_processor_mode: 1
  - .args:
      - .actual_access:  read_only
        .address_space:  global
        .offset:         0
        .size:           8
        .value_kind:     global_buffer
      - .actual_access:  read_only
        .address_space:  global
        .offset:         8
        .size:           8
        .value_kind:     global_buffer
      - .actual_access:  write_only
        .address_space:  global
        .offset:         16
        .size:           8
        .value_kind:     global_buffer
      - .offset:         24
        .size:           4
        .value_kind:     by_value
      - .offset:         28
        .size:           4
        .value_kind:     by_value
      - .offset:         32
        .size:           4
        .value_kind:     by_value
      - .offset:         36
        .size:           1
        .value_kind:     by_value
      - .offset:         37
        .size:           1
        .value_kind:     by_value
      - .offset:         38
        .size:           1
        .value_kind:     by_value
      - .offset:         40
        .size:           4
        .value_kind:     hidden_block_count_x
      - .offset:         44
        .size:           4
        .value_kind:     hidden_block_count_y
      - .offset:         48
        .size:           4
        .value_kind:     hidden_block_count_z
      - .offset:         52
        .size:           2
        .value_kind:     hidden_group_size_x
      - .offset:         54
        .size:           2
        .value_kind:     hidden_group_size_y
      - .offset:         56
        .size:           2
        .value_kind:     hidden_group_size_z
      - .offset:         58
        .size:           2
        .value_kind:     hidden_remainder_x
      - .offset:         60
        .size:           2
        .value_kind:     hidden_remainder_y
      - .offset:         62
        .size:           2
        .value_kind:     hidden_remainder_z
      - .offset:         80
        .size:           8
        .value_kind:     hidden_global_offset_x
      - .offset:         88
        .size:           8
        .value_kind:     hidden_global_offset_y
      - .offset:         96
        .size:           8
        .value_kind:     hidden_global_offset_z
      - .offset:         104
        .size:           2
        .value_kind:     hidden_grid_dims
    .group_segment_fixed_size: 0
    .kernarg_segment_align: 8
    .kernarg_segment_size: 296
    .language:       OpenCL C
    .language_version:
      - 2
      - 0
    .max_flat_workgroup_size: 256
    .name:           _ZN2ck17naive_gemm_kernelINS_13tensor_layout4gemm8RowMajorENS2_11ColumnMajorES3_aaaiNS_16tensor_operation12element_wise11PassThroughES7_S7_aaEEvPKT2_PKT3_PT4_iiiT6_T7_T8_
    .private_segment_fixed_size: 0
    .sgpr_count:     18
    .sgpr_spill_count: 0
    .symbol:         _ZN2ck17naive_gemm_kernelINS_13tensor_layout4gemm8RowMajorENS2_11ColumnMajorES3_aaaiNS_16tensor_operation12element_wise11PassThroughES7_S7_aaEEvPKT2_PKT3_PT4_iiiT6_T7_T8_.kd
    .uniform_work_group_size: 1
    .uses_dynamic_stack: false
    .vgpr_count:     9
    .vgpr_spill_count: 0
    .wavefront_size: 32
    .workgroup_processor_mode: 1
amdhsa.target:   amdgcn-amd-amdhsa--gfx1100
amdhsa.version:
  - 1
  - 2
...

	.end_amdgpu_metadata
